;; amdgpu-corpus repo=ROCm/rocFFT kind=compiled arch=gfx1201 opt=O3
	.text
	.amdgcn_target "amdgcn-amd-amdhsa--gfx1201"
	.amdhsa_code_object_version 6
	.protected	bluestein_single_back_len714_dim1_dp_op_CI_CI ; -- Begin function bluestein_single_back_len714_dim1_dp_op_CI_CI
	.globl	bluestein_single_back_len714_dim1_dp_op_CI_CI
	.p2align	8
	.type	bluestein_single_back_len714_dim1_dp_op_CI_CI,@function
bluestein_single_back_len714_dim1_dp_op_CI_CI: ; @bluestein_single_back_len714_dim1_dp_op_CI_CI
; %bb.0:
	s_load_b128 s[8:11], s[0:1], 0x28
	v_mul_u32_u24_e32 v1, 0x506, v0
	s_mov_b32 s2, exec_lo
	v_mov_b32_e32 v5, 0
	s_delay_alu instid0(VALU_DEP_2) | instskip(NEXT) | instid1(VALU_DEP_1)
	v_lshrrev_b32_e32 v1, 16, v1
	v_add_nc_u32_e32 v4, ttmp9, v1
	s_wait_kmcnt 0x0
	s_delay_alu instid0(VALU_DEP_1)
	v_cmpx_gt_u64_e64 s[8:9], v[4:5]
	s_cbranch_execz .LBB0_23
; %bb.1:
	s_clause 0x1
	s_load_b128 s[4:7], s[0:1], 0x18
	s_load_b64 s[16:17], s[0:1], 0x0
	v_mul_lo_u16 v1, v1, 51
	s_movk_i32 s2, 0xfe57
	s_mov_b32 s3, -1
	v_mov_b32_e32 v5, v4
	s_delay_alu instid0(VALU_DEP_2) | instskip(SKIP_2) | instid1(VALU_DEP_1)
	v_sub_nc_u16 v40, v0, v1
	scratch_store_b64 off, v[5:6], off offset:168 ; 8-byte Folded Spill
	v_and_b32_e32 v236, 0xffff, v40
	v_lshlrev_b32_e32 v255, 4, v236
	s_wait_kmcnt 0x0
	s_load_b128 s[12:15], s[4:5], 0x0
	s_clause 0x9
	global_load_b128 v[106:109], v255, s[16:17]
	global_load_b128 v[110:113], v255, s[16:17] offset:816
	global_load_b128 v[114:117], v255, s[16:17] offset:3808
	;; [unrolled: 1-line block ×9, first 2 shown]
	s_wait_kmcnt 0x0
	v_mad_co_u64_u32 v[0:1], null, s14, v4, 0
	v_mad_co_u64_u32 v[2:3], null, s12, v236, 0
	s_mul_u64 s[4:5], s[12:13], 0xee
	s_mul_u64 s[2:3], s[12:13], s[2:3]
	s_delay_alu instid0(SALU_CYCLE_1) | instskip(NEXT) | instid1(VALU_DEP_1)
	s_lshl_b64 s[2:3], s[2:3], 4
	v_mad_co_u64_u32 v[4:5], null, s15, v4, v[1:2]
	s_delay_alu instid0(VALU_DEP_1) | instskip(SKIP_1) | instid1(VALU_DEP_1)
	v_mad_co_u64_u32 v[5:6], null, s13, v236, v[3:4]
	v_mov_b32_e32 v1, v4
	v_lshlrev_b64_e32 v[0:1], 4, v[0:1]
	s_delay_alu instid0(VALU_DEP_3) | instskip(NEXT) | instid1(VALU_DEP_2)
	v_mov_b32_e32 v3, v5
	v_add_co_u32 v0, vcc_lo, s10, v0
	s_delay_alu instid0(VALU_DEP_2) | instskip(NEXT) | instid1(VALU_DEP_4)
	v_lshlrev_b64_e32 v[2:3], 4, v[2:3]
	v_add_co_ci_u32_e32 v1, vcc_lo, s11, v1, vcc_lo
	s_lshl_b64 s[10:11], s[4:5], 4
	s_delay_alu instid0(VALU_DEP_2) | instskip(SKIP_1) | instid1(VALU_DEP_2)
	v_add_co_u32 v0, vcc_lo, v0, v2
	s_wait_alu 0xfffd
	v_add_co_ci_u32_e32 v1, vcc_lo, v1, v3, vcc_lo
	s_wait_alu 0xfffe
	s_delay_alu instid0(VALU_DEP_2) | instskip(SKIP_1) | instid1(VALU_DEP_2)
	v_add_co_u32 v6, vcc_lo, v0, s10
	s_wait_alu 0xfffd
	v_add_co_ci_u32_e32 v7, vcc_lo, s11, v1, vcc_lo
	s_delay_alu instid0(VALU_DEP_2) | instskip(SKIP_1) | instid1(VALU_DEP_2)
	v_add_co_u32 v10, vcc_lo, v6, s10
	s_wait_alu 0xfffd
	v_add_co_ci_u32_e32 v11, vcc_lo, s11, v7, vcc_lo
	s_clause 0x1
	global_load_b128 v[2:5], v[0:1], off
	global_load_b128 v[6:9], v[6:7], off
	v_add_co_u32 v14, vcc_lo, v10, s2
	s_wait_alu 0xfffd
	v_add_co_ci_u32_e32 v15, vcc_lo, s3, v11, vcc_lo
	s_delay_alu instid0(VALU_DEP_2) | instskip(SKIP_1) | instid1(VALU_DEP_2)
	v_add_co_u32 v0, vcc_lo, v14, s10
	s_wait_alu 0xfffd
	v_add_co_ci_u32_e32 v1, vcc_lo, s11, v15, vcc_lo
	s_clause 0x1
	global_load_b128 v[10:13], v[10:11], off
	global_load_b128 v[14:17], v[14:15], off
	v_add_co_u32 v22, vcc_lo, v0, s10
	s_wait_alu 0xfffd
	v_add_co_ci_u32_e32 v23, vcc_lo, s11, v1, vcc_lo
	global_load_b128 v[18:21], v[0:1], off
	v_add_co_u32 v0, vcc_lo, v22, s2
	s_wait_alu 0xfffd
	v_add_co_ci_u32_e32 v1, vcc_lo, s3, v23, vcc_lo
	global_load_b128 v[22:25], v[22:23], off
	v_add_co_u32 v30, vcc_lo, v0, s10
	s_wait_alu 0xfffd
	v_add_co_ci_u32_e32 v31, vcc_lo, s11, v1, vcc_lo
	global_load_b128 v[26:29], v[0:1], off
	v_add_co_u32 v0, vcc_lo, v30, s10
	s_wait_alu 0xfffd
	v_add_co_ci_u32_e32 v1, vcc_lo, s11, v31, vcc_lo
	global_load_b128 v[30:33], v[30:31], off
	v_add_co_u32 v38, vcc_lo, v0, s2
	s_wait_alu 0xfffd
	v_add_co_ci_u32_e32 v39, vcc_lo, s3, v1, vcc_lo
	global_load_b128 v[34:37], v[0:1], off
	v_add_co_u32 v44, vcc_lo, v38, s10
	s_wait_alu 0xfffd
	v_add_co_ci_u32_e32 v45, vcc_lo, s11, v39, vcc_lo
	global_load_b128 v[48:51], v[38:39], off
	v_add_co_u32 v0, vcc_lo, v44, s10
	s_wait_alu 0xfffd
	v_add_co_ci_u32_e32 v1, vcc_lo, s11, v45, vcc_lo
	global_load_b128 v[146:149], v255, s[16:17] offset:6256
	global_load_b128 v[52:55], v[44:45], off
	global_load_b128 v[41:44], v255, s[16:17] offset:10064
	global_load_b128 v[56:59], v[0:1], off
	v_cmp_gt_u16_e32 vcc_lo, 34, v40
	s_wait_loadcnt 0x17
	scratch_store_b128 off, v[106:109], off offset:8 ; 16-byte Folded Spill
	s_wait_loadcnt 0x16
	scratch_store_b128 off, v[110:113], off offset:24 ; 16-byte Folded Spill
	;; [unrolled: 2-line block ×7, first 2 shown]
	s_wait_loadcnt 0xe
	s_clause 0x2
	scratch_store_b128 off, v[142:145], off offset:152
	scratch_store_b128 off, v[130:133], off offset:104
	;; [unrolled: 1-line block ×3, first 2 shown]
	s_wait_loadcnt 0xd
	v_mul_f64_e32 v[38:39], v[4:5], v[108:109]
	v_mul_f64_e32 v[60:61], v[2:3], v[108:109]
	s_wait_loadcnt 0xc
	v_mul_f64_e32 v[62:63], v[8:9], v[116:117]
	v_mul_f64_e32 v[64:65], v[6:7], v[116:117]
	s_wait_loadcnt 0xb
	v_mul_f64_e32 v[66:67], v[12:13], v[124:125]
	s_wait_loadcnt 0xa
	v_mul_f64_e32 v[70:71], v[16:17], v[112:113]
	v_mul_f64_e32 v[72:73], v[14:15], v[112:113]
	;; [unrolled: 1-line block ×3, first 2 shown]
	s_wait_loadcnt 0x9
	v_mul_f64_e32 v[74:75], v[20:21], v[120:121]
	v_mul_f64_e32 v[76:77], v[18:19], v[120:121]
	s_wait_loadcnt 0x8
	v_mul_f64_e32 v[78:79], v[24:25], v[128:129]
	v_mul_f64_e32 v[80:81], v[22:23], v[128:129]
	s_wait_loadcnt 0x7
	v_mul_f64_e32 v[82:83], v[28:29], v[140:141]
	v_mul_f64_e32 v[84:85], v[26:27], v[140:141]
	s_wait_loadcnt 0x6
	v_mul_f64_e32 v[86:87], v[32:33], v[132:133]
	v_mul_f64_e32 v[88:89], v[30:31], v[132:133]
	s_wait_loadcnt 0x5
	v_mul_f64_e32 v[90:91], v[36:37], v[136:137]
	v_mul_f64_e32 v[96:97], v[34:35], v[136:137]
	v_fma_f64 v[2:3], v[2:3], v[106:107], v[38:39]
	v_fma_f64 v[4:5], v[4:5], v[106:107], -v[60:61]
	v_fma_f64 v[6:7], v[6:7], v[114:115], v[62:63]
	s_wait_loadcnt 0x4
	v_mul_f64_e32 v[92:93], v[50:51], v[144:145]
	v_mul_f64_e32 v[94:95], v[48:49], v[144:145]
	v_fma_f64 v[8:9], v[8:9], v[114:115], -v[64:65]
	s_wait_loadcnt 0x2
	v_mul_f64_e32 v[98:99], v[54:55], v[148:149]
	v_mul_f64_e32 v[100:101], v[52:53], v[148:149]
	s_wait_loadcnt 0x0
	v_mul_f64_e32 v[102:103], v[58:59], v[43:44]
	v_mul_f64_e32 v[104:105], v[56:57], v[43:44]
	v_fma_f64 v[10:11], v[10:11], v[122:123], v[66:67]
	v_fma_f64 v[14:15], v[14:15], v[110:111], v[70:71]
	v_fma_f64 v[16:17], v[16:17], v[110:111], -v[72:73]
	v_fma_f64 v[12:13], v[12:13], v[122:123], -v[68:69]
	s_clause 0x1
	scratch_store_b128 off, v[146:149], off offset:176
	scratch_store_b128 off, v[41:44], off offset:192
	v_fma_f64 v[18:19], v[18:19], v[118:119], v[74:75]
	v_fma_f64 v[20:21], v[20:21], v[118:119], -v[76:77]
	s_load_b64 s[8:9], s[0:1], 0x38
	s_load_b128 s[4:7], s[6:7], 0x0
	v_add_co_u32 v38, s12, s16, v255
	v_fma_f64 v[22:23], v[22:23], v[126:127], v[78:79]
	v_fma_f64 v[24:25], v[24:25], v[126:127], -v[80:81]
	s_wait_alu 0xf1ff
	v_add_co_ci_u32_e64 v39, null, s17, 0, s12
	v_fma_f64 v[26:27], v[26:27], v[138:139], v[82:83]
	v_fma_f64 v[28:29], v[28:29], v[138:139], -v[84:85]
	scratch_store_b64 off, v[38:39], off    ; 8-byte Folded Spill
	v_fma_f64 v[30:31], v[30:31], v[130:131], v[86:87]
	v_fma_f64 v[32:33], v[32:33], v[130:131], -v[88:89]
	v_fma_f64 v[34:35], v[34:35], v[134:135], v[90:91]
	v_fma_f64 v[36:37], v[36:37], v[134:135], -v[96:97]
	;; [unrolled: 2-line block ×3, first 2 shown]
	ds_store_b128 v255, v[2:5]
	ds_store_b128 v255, v[14:17] offset:816
	ds_store_b128 v255, v[6:9] offset:3808
	ds_store_b128 v255, v[18:21] offset:4624
	ds_store_b128 v255, v[10:13] offset:7616
	ds_store_b128 v255, v[22:25] offset:8432
	ds_store_b128 v255, v[26:29] offset:1632
	ds_store_b128 v255, v[48:51] offset:2448
	v_fma_f64 v[52:53], v[52:53], v[146:147], v[98:99]
	v_fma_f64 v[54:55], v[54:55], v[146:147], -v[100:101]
	v_fma_f64 v[56:57], v[56:57], v[41:42], v[102:103]
	v_fma_f64 v[58:59], v[58:59], v[41:42], -v[104:105]
	ds_store_b128 v255, v[30:33] offset:5440
	ds_store_b128 v255, v[52:55] offset:6256
	;; [unrolled: 1-line block ×4, first 2 shown]
	s_and_saveexec_b32 s12, vcc_lo
	s_cbranch_execz .LBB0_3
; %bb.2:
	scratch_load_b64 v[16:17], off, off     ; 8-byte Folded Reload
	v_add_co_u32 v0, s2, v0, s2
	s_wait_alu 0xf1ff
	v_add_co_ci_u32_e64 v1, s2, s3, v1, s2
	s_delay_alu instid0(VALU_DEP_2) | instskip(SKIP_1) | instid1(VALU_DEP_2)
	v_add_co_u32 v8, s2, v0, s10
	s_wait_alu 0xf1ff
	v_add_co_ci_u32_e64 v9, s2, s11, v1, s2
	global_load_b128 v[0:3], v[0:1], off
	v_add_co_u32 v20, s2, v8, s10
	s_wait_alu 0xf1ff
	v_add_co_ci_u32_e64 v21, s2, s11, v9, s2
	s_wait_loadcnt 0x1
	global_load_b128 v[4:7], v[16:17], off offset:3264
	global_load_b128 v[8:11], v[8:9], off
	s_clause 0x1
	global_load_b128 v[12:15], v[16:17], off offset:7072
	global_load_b128 v[16:19], v[16:17], off offset:10880
	global_load_b128 v[20:23], v[20:21], off
	s_wait_loadcnt 0x4
	v_mul_f64_e32 v[24:25], v[2:3], v[6:7]
	v_mul_f64_e32 v[6:7], v[0:1], v[6:7]
	s_wait_loadcnt 0x2
	v_mul_f64_e32 v[26:27], v[10:11], v[14:15]
	v_mul_f64_e32 v[14:15], v[8:9], v[14:15]
	;; [unrolled: 3-line block ×3, first 2 shown]
	v_fma_f64 v[0:1], v[0:1], v[4:5], v[24:25]
	v_fma_f64 v[2:3], v[2:3], v[4:5], -v[6:7]
	v_fma_f64 v[4:5], v[8:9], v[12:13], v[26:27]
	v_fma_f64 v[6:7], v[10:11], v[12:13], -v[14:15]
	;; [unrolled: 2-line block ×3, first 2 shown]
	ds_store_b128 v255, v[0:3] offset:3264
	ds_store_b128 v255, v[4:7] offset:7072
	;; [unrolled: 1-line block ×3, first 2 shown]
.LBB0_3:
	s_wait_alu 0xfffe
	s_or_b32 exec_lo, exec_lo, s12
	global_wb scope:SCOPE_SE
	s_wait_storecnt_dscnt 0x0
	s_wait_kmcnt 0x0
	s_barrier_signal -1
	s_barrier_wait -1
	global_inv scope:SCOPE_SE
	ds_load_b128 v[72:75], v255
	ds_load_b128 v[60:63], v255 offset:816
	ds_load_b128 v[92:95], v255 offset:3808
	;; [unrolled: 1-line block ×11, first 2 shown]
                                        ; implicit-def: $vgpr80_vgpr81
                                        ; implicit-def: $vgpr104_vgpr105
                                        ; implicit-def: $vgpr100_vgpr101
	s_and_saveexec_b32 s2, vcc_lo
	s_cbranch_execz .LBB0_5
; %bb.4:
	ds_load_b128 v[80:83], v255 offset:3264
	ds_load_b128 v[104:107], v255 offset:7072
	;; [unrolled: 1-line block ×3, first 2 shown]
.LBB0_5:
	s_wait_alu 0xfffe
	s_or_b32 exec_lo, exec_lo, s2
	s_wait_dscnt 0x7
	v_add_f64_e32 v[0:1], v[92:93], v[52:53]
	v_add_f64_e32 v[2:3], v[94:95], v[54:55]
	s_wait_dscnt 0x6
	v_add_f64_e32 v[4:5], v[84:85], v[48:49]
	v_add_f64_e32 v[6:7], v[86:87], v[50:51]
	;; [unrolled: 3-line block ×4, first 2 shown]
	v_add_f64_e32 v[16:17], v[104:105], v[100:101]
	v_add_f64_e32 v[18:19], v[106:107], v[102:103]
	;; [unrolled: 1-line block ×3, first 2 shown]
	v_add_f64_e64 v[22:23], v[94:95], -v[54:55]
	v_add_f64_e32 v[24:25], v[74:75], v[94:95]
	v_add_f64_e32 v[26:27], v[60:61], v[84:85]
	;; [unrolled: 1-line block ×9, first 2 shown]
	v_add_f64_e64 v[98:99], v[98:99], -v[66:67]
	v_add_f64_e64 v[110:111], v[104:105], -v[100:101]
	s_mov_b32 s2, 0xe8584caa
	s_mov_b32 s3, 0x3febb67a
	;; [unrolled: 1-line block ×3, first 2 shown]
	s_wait_alu 0xfffe
	s_mov_b32 s10, s2
	global_wb scope:SCOPE_SE
	s_barrier_signal -1
	s_barrier_wait -1
	global_inv scope:SCOPE_SE
	v_fma_f64 v[0:1], v[0:1], -0.5, v[72:73]
	v_add_f64_e64 v[72:73], v[92:93], -v[52:53]
	v_fma_f64 v[2:3], v[2:3], -0.5, v[74:75]
	v_add_f64_e64 v[74:75], v[86:87], -v[50:51]
	;; [unrolled: 2-line block ×3, first 2 shown]
	v_fma_f64 v[6:7], v[6:7], -0.5, v[62:63]
	v_fma_f64 v[8:9], v[8:9], -0.5, v[76:77]
	v_add_f64_e64 v[76:77], v[96:97], -v[64:65]
	v_fma_f64 v[10:11], v[10:11], -0.5, v[78:79]
	v_add_f64_e64 v[78:79], v[90:91], -v[58:59]
	;; [unrolled: 2-line block ×4, first 2 shown]
	v_fma_f64 v[16:17], v[16:17], -0.5, v[80:81]
	v_fma_f64 v[18:19], v[18:19], -0.5, v[82:83]
	v_add_f64_e32 v[84:85], v[20:21], v[52:53]
	v_add_f64_e32 v[86:87], v[24:25], v[54:55]
	;; [unrolled: 1-line block ×10, first 2 shown]
	v_fma_f64 v[64:65], v[22:23], s[2:3], v[0:1]
	s_wait_alu 0xfffe
	v_fma_f64 v[52:53], v[22:23], s[10:11], v[0:1]
	v_fma_f64 v[66:67], v[72:73], s[10:11], v[2:3]
	;; [unrolled: 1-line block ×19, first 2 shown]
	s_load_b64 s[2:3], s[0:1], 0x8
	v_mul_lo_u16 v3, v236, 3
	v_add_nc_u32_e32 v0, 51, v236
	v_add_nc_u32_e32 v1, 0x66, v236
	;; [unrolled: 1-line block ×3, first 2 shown]
	v_add_co_u32 v4, null, 0xcc, v236
	v_and_b32_e32 v3, 0xffff, v3
	v_mul_u32_u24_e32 v0, 3, v0
	v_mul_u32_u24_e32 v1, 3, v1
	;; [unrolled: 1-line block ×3, first 2 shown]
	s_delay_alu instid0(VALU_DEP_4) | instskip(SKIP_1) | instid1(VALU_DEP_4)
	v_lshlrev_b32_e32 v5, 4, v3
	v_mul_u32_u24_e32 v3, 3, v4
	v_lshlrev_b32_e32 v1, 4, v1
	scratch_store_b32 off, v3, off offset:216 ; 4-byte Folded Spill
	v_lshlrev_b32_e32 v3, 4, v0
	v_lshlrev_b32_e32 v0, 4, v2
	ds_store_b128 v5, v[84:87]
	ds_store_b128 v5, v[64:67] offset:16
	scratch_store_b32 off, v5, off offset:248 ; 4-byte Folded Spill
	ds_store_b128 v5, v[52:55] offset:32
	ds_store_b128 v3, v[60:63]
	ds_store_b128 v3, v[80:83] offset:16
	scratch_store_b32 off, v3, off offset:256 ; 4-byte Folded Spill
	ds_store_b128 v3, v[100:103] offset:32
	;; [unrolled: 4-line block ×4, first 2 shown]
	s_and_saveexec_b32 s0, vcc_lo
	s_cbranch_execz .LBB0_7
; %bb.6:
	scratch_load_b32 v0, off, off offset:216 ; 4-byte Folded Reload
	s_wait_loadcnt 0x0
	v_lshlrev_b32_e32 v0, 4, v0
	ds_store_b128 v0, v[124:127]
	ds_store_b128 v0, v[104:107] offset:16
	ds_store_b128 v0, v[108:111] offset:32
.LBB0_7:
	s_wait_alu 0xfffe
	s_or_b32 exec_lo, exec_lo, s0
	v_cmp_gt_u16_e64 s0, 42, v236
	global_wb scope:SCOPE_SE
	s_wait_storecnt_dscnt 0x0
	s_wait_kmcnt 0x0
	s_barrier_signal -1
	s_barrier_wait -1
	global_inv scope:SCOPE_SE
                                        ; implicit-def: $vgpr76_vgpr77
                                        ; implicit-def: $vgpr128_vgpr129
	s_and_saveexec_b32 s1, s0
	s_cbranch_execz .LBB0_9
; %bb.8:
	ds_load_b128 v[84:87], v255
	ds_load_b128 v[64:67], v255 offset:672
	ds_load_b128 v[52:55], v255 offset:1344
	;; [unrolled: 1-line block ×16, first 2 shown]
.LBB0_9:
	s_wait_alu 0xfffe
	s_or_b32 exec_lo, exec_lo, s1
	v_and_b32_e32 v0, 0xff, v236
	s_mov_b32 s20, 0x5d8e7cdc
	s_mov_b32 s21, 0xbfd71e95
	;; [unrolled: 1-line block ×4, first 2 shown]
	v_mul_lo_u16 v0, 0xab, v0
	s_mov_b32 s15, 0x3fedd6d0
	s_mov_b32 s13, 0xbfe58eea
	;; [unrolled: 1-line block ×4, first 2 shown]
	v_lshrrev_b16 v0, 9, v0
	s_mov_b32 s30, 0x7c9e640b
	s_mov_b32 s31, 0xbfeca52d
	;; [unrolled: 1-line block ×4, first 2 shown]
	scratch_store_b32 off, v0, off offset:208 ; 4-byte Folded Spill
	v_mul_lo_u16 v0, v0, 3
	s_mov_b32 s26, 0xeb564b22
	s_mov_b32 s27, 0xbfefdd0d
	;; [unrolled: 1-line block ×4, first 2 shown]
	v_sub_nc_u16 v0, v236, v0
	s_mov_b32 s48, 0x923c349f
	s_mov_b32 s49, 0x3feec746
	;; [unrolled: 1-line block ×4, first 2 shown]
	v_and_b32_e32 v0, 0xff, v0
	s_mov_b32 s24, 0xc61f0d01
	s_mov_b32 s25, 0xbfd183b1
	;; [unrolled: 1-line block ×4, first 2 shown]
	scratch_store_b32 off, v0, off offset:212 ; 4-byte Folded Spill
	v_lshlrev_b32_e32 v0, 8, v0
	s_mov_b32 s28, 0x6ed5f1bb
	s_mov_b32 s29, 0xbfe348c8
	s_clause 0x1
	global_load_b128 v[3:6], v0, s[2:3]
	global_load_b128 v[56:59], v0, s[2:3] offset:16
	s_mov_b32 s42, 0x4363dd80
	s_mov_b32 s43, 0x3fe0d888
	;; [unrolled: 1-line block ×17, first 2 shown]
	s_wait_alu 0xfffe
	s_mov_b32 s56, s12
	s_wait_loadcnt 0x1
	scratch_store_b128 off, v[3:6], off offset:264 ; 16-byte Folded Spill
	s_clause 0x1
	global_load_b128 v[72:75], v0, s[2:3] offset:240
	global_load_b128 v[68:71], v0, s[2:3] offset:224
	s_wait_dscnt 0xf
	v_mul_f64_e32 v[1:2], v[64:65], v[5:6]
	s_delay_alu instid0(VALU_DEP_1) | instskip(SKIP_1) | instid1(VALU_DEP_1)
	v_fma_f64 v[28:29], v[66:67], v[3:4], v[1:2]
	v_mul_f64_e32 v[1:2], v[66:67], v[5:6]
	v_fma_f64 v[18:19], v[64:65], v[3:4], -v[1:2]
	s_clause 0x1
	global_load_b128 v[3:6], v0, s[2:3] offset:32
	global_load_b128 v[64:67], v0, s[2:3] offset:48
	s_wait_loadcnt_dscnt 0x300
	v_mul_f64_e32 v[1:2], v[128:129], v[74:75]
	s_delay_alu instid0(VALU_DEP_1) | instskip(SKIP_1) | instid1(VALU_DEP_1)
	v_fma_f64 v[40:41], v[130:131], v[72:73], v[1:2]
	v_mul_f64_e32 v[1:2], v[130:131], v[74:75]
	v_fma_f64 v[42:43], v[128:129], v[72:73], -v[1:2]
	v_mul_f64_e32 v[1:2], v[52:53], v[58:59]
	s_wait_loadcnt 0x1
	scratch_store_b128 off, v[3:6], off offset:280 ; 16-byte Folded Spill
	v_add_f64_e64 v[32:33], v[18:19], -v[42:43]
	v_fma_f64 v[136:137], v[54:55], v[56:57], v[1:2]
	v_mul_f64_e32 v[1:2], v[54:55], v[58:59]
	s_delay_alu instid0(VALU_DEP_3) | instskip(SKIP_1) | instid1(VALU_DEP_3)
	v_mul_f64_e32 v[36:37], s[12:13], v[32:33]
	v_mul_f64_e32 v[176:177], s[30:31], v[32:33]
	v_fma_f64 v[138:139], v[52:53], v[56:57], -v[1:2]
	v_mul_f64_e32 v[1:2], v[76:77], v[70:71]
	s_delay_alu instid0(VALU_DEP_1) | instskip(SKIP_1) | instid1(VALU_DEP_2)
	v_fma_f64 v[44:45], v[78:79], v[68:69], v[1:2]
	v_mul_f64_e32 v[1:2], v[78:79], v[70:71]
	v_add_f64_e64 v[214:215], v[136:137], -v[44:45]
	s_delay_alu instid0(VALU_DEP_2) | instskip(SKIP_2) | instid1(VALU_DEP_3)
	v_fma_f64 v[46:47], v[76:77], v[68:69], -v[1:2]
	v_mul_f64_e32 v[1:2], v[60:61], v[5:6]
	v_add_f64_e32 v[200:201], v[136:137], v[44:45]
	v_add_f64_e32 v[196:197], v[138:139], v[46:47]
	s_delay_alu instid0(VALU_DEP_3) | instskip(SKIP_2) | instid1(VALU_DEP_2)
	v_fma_f64 v[140:141], v[62:63], v[3:4], v[1:2]
	v_mul_f64_e32 v[1:2], v[62:63], v[5:6]
	v_add_f64_e64 v[220:221], v[138:139], -v[46:47]
	v_fma_f64 v[180:181], v[60:61], v[3:4], -v[1:2]
	s_clause 0x3
	global_load_b128 v[60:63], v0, s[2:3] offset:208
	global_load_b128 v[76:79], v0, s[2:3] offset:192
	;; [unrolled: 1-line block ×4, first 2 shown]
	v_mul_f64_e32 v[4:5], s[12:13], v[220:221]
	v_mul_f64_e32 v[142:143], s[26:27], v[220:221]
	s_wait_loadcnt 0x3
	v_mul_f64_e32 v[1:2], v[108:109], v[62:63]
	s_delay_alu instid0(VALU_DEP_1) | instskip(SKIP_1) | instid1(VALU_DEP_2)
	v_fma_f64 v[182:183], v[110:111], v[60:61], v[1:2]
	v_mul_f64_e32 v[1:2], v[110:111], v[62:63]
	v_add_f64_e64 v[226:227], v[140:141], -v[182:183]
	s_delay_alu instid0(VALU_DEP_2) | instskip(SKIP_2) | instid1(VALU_DEP_4)
	v_fma_f64 v[184:185], v[108:109], v[60:61], -v[1:2]
	v_mul_f64_e32 v[1:2], v[80:81], v[66:67]
	v_add_f64_e32 v[212:213], v[140:141], v[182:183]
	v_mul_f64_e32 v[154:155], s[44:45], v[226:227]
	s_delay_alu instid0(VALU_DEP_4) | instskip(NEXT) | instid1(VALU_DEP_4)
	v_add_f64_e32 v[204:205], v[180:181], v[184:185]
	v_fma_f64 v[188:189], v[82:83], v[64:65], v[1:2]
	v_mul_f64_e32 v[1:2], v[82:83], v[66:67]
	v_add_f64_e64 v[222:223], v[180:181], -v[184:185]
	s_delay_alu instid0(VALU_DEP_2)
	v_fma_f64 v[206:207], v[80:81], v[64:65], -v[1:2]
	s_clause 0x1
	global_load_b128 v[108:111], v0, s[2:3] offset:176
	global_load_b128 v[80:83], v0, s[2:3] offset:160
	s_wait_loadcnt 0x4
	v_mul_f64_e32 v[1:2], v[104:105], v[78:79]
	s_clause 0x1
	global_load_b128 v[132:135], v0, s[2:3] offset:96
	global_load_b128 v[128:131], v0, s[2:3] offset:112
	v_mul_f64_e32 v[150:151], s[40:41], v[222:223]
	v_fma_f64 v[186:187], v[106:107], v[76:77], v[1:2]
	v_mul_f64_e32 v[1:2], v[106:107], v[78:79]
	s_delay_alu instid0(VALU_DEP_2) | instskip(NEXT) | instid1(VALU_DEP_2)
	v_add_f64_e64 v[234:235], v[188:189], -v[186:187]
	v_fma_f64 v[104:105], v[104:105], v[76:77], -v[1:2]
	s_wait_loadcnt 0x5
	v_mul_f64_e32 v[1:2], v[100:101], v[166:167]
	v_add_f64_e32 v[216:217], v[188:189], v[186:187]
	s_delay_alu instid0(VALU_DEP_4) | instskip(NEXT) | instid1(VALU_DEP_4)
	v_mul_f64_e32 v[158:159], s[48:49], v[234:235]
	v_add_f64_e32 v[208:209], v[206:207], v[104:105]
	s_delay_alu instid0(VALU_DEP_4) | instskip(SKIP_2) | instid1(VALU_DEP_2)
	v_fma_f64 v[106:107], v[102:103], v[164:165], v[1:2]
	v_mul_f64_e32 v[1:2], v[102:103], v[166:167]
	v_add_f64_e64 v[228:229], v[206:207], -v[104:105]
	v_fma_f64 v[100:101], v[100:101], v[164:165], -v[1:2]
	s_delay_alu instid0(VALU_DEP_2) | instskip(SKIP_3) | instid1(VALU_DEP_1)
	v_mul_f64_e32 v[156:157], s[52:53], v[228:229]
	v_mul_f64_e32 v[16:17], s[48:49], v[228:229]
	s_wait_loadcnt 0x3
	v_mul_f64_e32 v[1:2], v[124:125], v[110:111]
	v_fma_f64 v[102:103], v[126:127], v[108:109], v[1:2]
	v_mul_f64_e32 v[1:2], v[126:127], v[110:111]
	s_delay_alu instid0(VALU_DEP_2) | instskip(NEXT) | instid1(VALU_DEP_2)
	v_add_f64_e64 v[243:244], v[106:107], -v[102:103]
	v_fma_f64 v[6:7], v[124:125], v[108:109], -v[1:2]
	v_mul_f64_e32 v[1:2], v[116:117], v[170:171]
	v_add_f64_e32 v[230:231], v[106:107], v[102:103]
	s_delay_alu instid0(VALU_DEP_4) | instskip(NEXT) | instid1(VALU_DEP_4)
	v_mul_f64_e32 v[144:145], s[42:43], v[243:244]
	v_add_f64_e32 v[224:225], v[100:101], v[6:7]
	s_delay_alu instid0(VALU_DEP_4) | instskip(SKIP_2) | instid1(VALU_DEP_2)
	v_fma_f64 v[10:11], v[118:119], v[168:169], v[1:2]
	v_mul_f64_e32 v[1:2], v[118:119], v[170:171]
	v_add_f64_e64 v[198:199], v[100:101], -v[6:7]
	v_fma_f64 v[12:13], v[116:117], v[168:169], -v[1:2]
	s_clause 0x1
	global_load_b128 v[116:119], v0, s[2:3] offset:144
	global_load_b128 v[124:127], v0, s[2:3] offset:128
	s_wait_loadcnt 0x4
	v_mul_f64_e32 v[1:2], v[120:121], v[82:83]
	scratch_store_b64 off, v[6:7], off offset:296 ; 8-byte Folded Spill
	v_mul_f64_e32 v[160:161], s[42:43], v[198:199]
	v_mul_f64_e32 v[22:23], s[56:57], v[198:199]
	scratch_store_b64 off, v[4:5], off offset:336 ; 8-byte Folded Spill
	v_fma_f64 v[4:5], v[200:201], s[10:11], -v[4:5]
	scratch_store_b64 off, v[12:13], off offset:320 ; 8-byte Folded Spill
	v_fma_f64 v[8:9], v[122:123], v[80:81], v[1:2]
	v_mul_f64_e32 v[1:2], v[122:123], v[82:83]
	s_delay_alu instid0(VALU_DEP_2) | instskip(NEXT) | instid1(VALU_DEP_2)
	v_add_f64_e64 v[247:248], v[10:11], -v[8:9]
	v_fma_f64 v[120:121], v[120:121], v[80:81], -v[1:2]
	s_wait_loadcnt 0x3
	v_mul_f64_e32 v[1:2], v[112:113], v[134:135]
	v_add_f64_e32 v[241:242], v[10:11], v[8:9]
	s_delay_alu instid0(VALU_DEP_4) | instskip(NEXT) | instid1(VALU_DEP_4)
	v_mul_f64_e32 v[146:147], s[48:49], v[247:248]
	v_add_f64_e32 v[237:238], v[12:13], v[120:121]
	s_delay_alu instid0(VALU_DEP_4) | instskip(SKIP_2) | instid1(VALU_DEP_2)
	v_fma_f64 v[122:123], v[114:115], v[132:133], v[1:2]
	v_mul_f64_e32 v[1:2], v[114:115], v[134:135]
	v_add_f64_e64 v[210:211], v[12:13], -v[120:121]
	v_fma_f64 v[112:113], v[112:113], v[132:133], -v[1:2]
	v_mul_f64_e32 v[2:3], s[12:13], v[214:215]
	s_delay_alu instid0(VALU_DEP_3) | instskip(SKIP_4) | instid1(VALU_DEP_1)
	v_mul_f64_e32 v[26:27], s[20:21], v[210:211]
	scratch_store_b64 off, v[2:3], off offset:328 ; 8-byte Folded Spill
	v_fma_f64 v[2:3], v[196:197], s[10:11], v[2:3]
	s_wait_loadcnt 0x1
	v_mul_f64_e32 v[0:1], v[96:97], v[118:119]
	v_fma_f64 v[114:115], v[98:99], v[116:117], v[0:1]
	v_mul_f64_e32 v[0:1], v[98:99], v[118:119]
	s_delay_alu instid0(VALU_DEP_2) | instskip(NEXT) | instid1(VALU_DEP_2)
	v_add_f64_e64 v[251:252], v[122:123], -v[114:115]
	v_fma_f64 v[96:97], v[96:97], v[116:117], -v[0:1]
	v_mul_f64_e32 v[0:1], v[92:93], v[130:131]
	v_add_f64_e32 v[249:250], v[122:123], v[114:115]
	s_delay_alu instid0(VALU_DEP_4) | instskip(NEXT) | instid1(VALU_DEP_4)
	v_mul_f64_e32 v[148:149], s[50:51], v[251:252]
	v_add_f64_e32 v[245:246], v[112:113], v[96:97]
	s_delay_alu instid0(VALU_DEP_4) | instskip(SKIP_3) | instid1(VALU_DEP_3)
	v_fma_f64 v[98:99], v[94:95], v[128:129], v[0:1]
	v_mul_f64_e32 v[0:1], v[94:95], v[130:131]
	v_add_f64_e32 v[94:95], v[28:29], v[40:41]
	v_add_f64_e64 v[218:219], v[112:113], -v[96:97]
	v_fma_f64 v[190:191], v[92:93], v[128:129], -v[0:1]
	s_wait_loadcnt 0x0
	v_mul_f64_e32 v[0:1], v[88:89], v[126:127]
	v_mul_f64_e32 v[92:93], s[20:21], v[32:33]
	s_delay_alu instid0(VALU_DEP_2) | instskip(SKIP_2) | instid1(VALU_DEP_3)
	v_fma_f64 v[192:193], v[90:91], v[124:125], v[0:1]
	v_mul_f64_e32 v[0:1], v[90:91], v[126:127]
	v_add_f64_e64 v[90:91], v[28:29], -v[40:41]
	v_add_f64_e64 v[232:233], v[98:99], -v[192:193]
	s_delay_alu instid0(VALU_DEP_3) | instskip(SKIP_1) | instid1(VALU_DEP_4)
	v_fma_f64 v[194:195], v[88:89], v[124:125], -v[0:1]
	v_add_f64_e32 v[88:89], v[18:19], v[42:43]
	v_mul_f64_e32 v[30:31], s[20:21], v[90:91]
	v_add_f64_e32 v[202:203], v[98:99], v[192:193]
	v_mul_f64_e32 v[34:35], s[12:13], v[90:91]
	v_mul_f64_e32 v[38:39], s[30:31], v[90:91]
	;; [unrolled: 1-line block ×3, first 2 shown]
	v_add_f64_e32 v[253:254], v[190:191], v[194:195]
	v_add_f64_e64 v[239:240], v[190:191], -v[194:195]
	v_fma_f64 v[0:1], v[88:89], s[14:15], v[30:31]
	s_delay_alu instid0(VALU_DEP_2) | instskip(NEXT) | instid1(VALU_DEP_2)
	v_mul_f64_e32 v[14:15], s[54:55], v[239:240]
	v_add_f64_e32 v[0:1], v[84:85], v[0:1]
	s_delay_alu instid0(VALU_DEP_1) | instskip(SKIP_1) | instid1(VALU_DEP_1)
	v_add_f64_e32 v[0:1], v[2:3], v[0:1]
	v_fma_f64 v[2:3], v[94:95], s[14:15], -v[92:93]
	v_add_f64_e32 v[2:3], v[86:87], v[2:3]
	s_delay_alu instid0(VALU_DEP_1) | instskip(SKIP_3) | instid1(VALU_DEP_1)
	v_add_f64_e32 v[2:3], v[4:5], v[2:3]
	v_mul_f64_e32 v[4:5], s[30:31], v[226:227]
	scratch_store_b64 off, v[4:5], off offset:344 ; 8-byte Folded Spill
	v_fma_f64 v[4:5], v[204:205], s[18:19], v[4:5]
	v_add_f64_e32 v[0:1], v[4:5], v[0:1]
	v_mul_f64_e32 v[4:5], s[30:31], v[222:223]
	scratch_store_b64 off, v[4:5], off offset:360 ; 8-byte Folded Spill
	v_fma_f64 v[4:5], v[212:213], s[18:19], -v[4:5]
	s_delay_alu instid0(VALU_DEP_1) | instskip(SKIP_3) | instid1(VALU_DEP_1)
	v_add_f64_e32 v[2:3], v[4:5], v[2:3]
	v_mul_f64_e32 v[4:5], s[26:27], v[234:235]
	scratch_store_b64 off, v[4:5], off offset:352 ; 8-byte Folded Spill
	v_fma_f64 v[4:5], v[208:209], s[22:23], v[4:5]
	v_add_f64_e32 v[0:1], v[4:5], v[0:1]
	v_mul_f64_e32 v[4:5], s[26:27], v[228:229]
	scratch_store_b64 off, v[4:5], off offset:368 ; 8-byte Folded Spill
	v_fma_f64 v[4:5], v[216:217], s[22:23], -v[4:5]
	s_delay_alu instid0(VALU_DEP_1) | instskip(SKIP_3) | instid1(VALU_DEP_1)
	v_add_f64_e32 v[2:3], v[4:5], v[2:3]
	v_mul_f64_e32 v[4:5], s[38:39], v[243:244]
	scratch_store_b64 off, v[4:5], off offset:376 ; 8-byte Folded Spill
	v_fma_f64 v[4:5], v[224:225], s[24:25], v[4:5]
	v_add_f64_e32 v[0:1], v[4:5], v[0:1]
	v_mul_f64_e32 v[4:5], s[38:39], v[198:199]
	scratch_store_b64 off, v[4:5], off offset:384 ; 8-byte Folded Spill
	v_fma_f64 v[4:5], v[230:231], s[24:25], -v[4:5]
	s_delay_alu instid0(VALU_DEP_1)
	v_add_f64_e32 v[2:3], v[4:5], v[2:3]
	v_mul_f64_e32 v[4:5], s[40:41], v[247:248]
	scratch_store_b64 off, v[4:5], off offset:392 ; 8-byte Folded Spill
	v_fma_f64 v[4:5], v[237:238], s[28:29], v[4:5]
	s_clause 0x1
	scratch_store_b64 off, v[8:9], off offset:304
	scratch_store_b64 off, v[10:11], off offset:312
	v_add_f64_e32 v[0:1], v[4:5], v[0:1]
	v_mul_f64_e32 v[4:5], s[40:41], v[210:211]
	scratch_store_b64 off, v[4:5], off offset:400 ; 8-byte Folded Spill
	v_fma_f64 v[4:5], v[241:242], s[28:29], -v[4:5]
	s_delay_alu instid0(VALU_DEP_1) | instskip(SKIP_3) | instid1(VALU_DEP_1)
	v_add_f64_e32 v[2:3], v[4:5], v[2:3]
	v_mul_f64_e32 v[4:5], s[46:47], v[251:252]
	scratch_store_b64 off, v[4:5], off offset:408 ; 8-byte Folded Spill
	v_fma_f64 v[4:5], v[245:246], s[34:35], v[4:5]
	v_add_f64_e32 v[0:1], v[4:5], v[0:1]
	v_mul_f64_e32 v[4:5], s[46:47], v[218:219]
	scratch_store_b64 off, v[4:5], off offset:416 ; 8-byte Folded Spill
	v_fma_f64 v[4:5], v[249:250], s[34:35], -v[4:5]
	s_delay_alu instid0(VALU_DEP_1) | instskip(SKIP_3) | instid1(VALU_DEP_1)
	v_add_f64_e32 v[2:3], v[4:5], v[2:3]
	v_mul_f64_e32 v[4:5], s[52:53], v[232:233]
	scratch_store_b64 off, v[4:5], off offset:424 ; 8-byte Folded Spill
	v_fma_f64 v[4:5], v[253:254], s[36:37], v[4:5]
	v_add_f64_e32 v[48:49], v[4:5], v[0:1]
	v_mul_f64_e32 v[0:1], s[52:53], v[239:240]
	v_fma_f64 v[4:5], v[200:201], s[22:23], -v[142:143]
	scratch_store_b64 off, v[0:1], off offset:432 ; 8-byte Folded Spill
	v_fma_f64 v[0:1], v[202:203], s[36:37], -v[0:1]
	s_delay_alu instid0(VALU_DEP_1) | instskip(SKIP_2) | instid1(VALU_DEP_2)
	v_add_f64_e32 v[50:51], v[0:1], v[2:3]
	v_fma_f64 v[0:1], v[88:89], s[10:11], v[34:35]
	v_mul_f64_e32 v[2:3], s[26:27], v[214:215]
	v_add_f64_e32 v[0:1], v[84:85], v[0:1]
	scratch_store_b64 off, v[2:3], off offset:440 ; 8-byte Folded Spill
	v_fma_f64 v[2:3], v[196:197], s[22:23], v[2:3]
	s_delay_alu instid0(VALU_DEP_1) | instskip(SKIP_1) | instid1(VALU_DEP_1)
	v_add_f64_e32 v[0:1], v[2:3], v[0:1]
	v_fma_f64 v[2:3], v[94:95], s[10:11], -v[36:37]
	v_add_f64_e32 v[2:3], v[86:87], v[2:3]
	s_delay_alu instid0(VALU_DEP_1) | instskip(SKIP_3) | instid1(VALU_DEP_1)
	v_add_f64_e32 v[2:3], v[4:5], v[2:3]
	v_mul_f64_e32 v[4:5], s[40:41], v[226:227]
	scratch_store_b64 off, v[4:5], off offset:456 ; 8-byte Folded Spill
	v_fma_f64 v[4:5], v[204:205], s[28:29], v[4:5]
	v_add_f64_e32 v[0:1], v[4:5], v[0:1]
	v_fma_f64 v[4:5], v[212:213], s[28:29], -v[150:151]
	s_delay_alu instid0(VALU_DEP_1) | instskip(SKIP_3) | instid1(VALU_DEP_1)
	v_add_f64_e32 v[2:3], v[4:5], v[2:3]
	v_mul_f64_e32 v[4:5], s[52:53], v[234:235]
	scratch_store_b64 off, v[4:5], off offset:472 ; 8-byte Folded Spill
	v_fma_f64 v[4:5], v[208:209], s[36:37], v[4:5]
	v_add_f64_e32 v[0:1], v[4:5], v[0:1]
	v_fma_f64 v[4:5], v[216:217], s[36:37], -v[156:157]
	s_delay_alu instid0(VALU_DEP_1) | instskip(SKIP_1) | instid1(VALU_DEP_1)
	v_add_f64_e32 v[2:3], v[4:5], v[2:3]
	v_fma_f64 v[4:5], v[224:225], s[34:35], v[144:145]
	v_add_f64_e32 v[0:1], v[4:5], v[0:1]
	v_fma_f64 v[4:5], v[230:231], s[34:35], -v[160:161]
	s_delay_alu instid0(VALU_DEP_1) | instskip(SKIP_1) | instid1(VALU_DEP_1)
	v_add_f64_e32 v[4:5], v[4:5], v[2:3]
	v_fma_f64 v[2:3], v[237:238], s[24:25], v[146:147]
	v_add_f64_e32 v[0:1], v[2:3], v[0:1]
	v_mul_f64_e32 v[2:3], s[48:49], v[210:211]
	s_delay_alu instid0(VALU_DEP_1) | instskip(NEXT) | instid1(VALU_DEP_1)
	v_fma_f64 v[6:7], v[241:242], s[24:25], -v[2:3]
	v_add_f64_e32 v[6:7], v[6:7], v[4:5]
	v_fma_f64 v[4:5], v[245:246], s[18:19], v[148:149]
	s_delay_alu instid0(VALU_DEP_1) | instskip(SKIP_1) | instid1(VALU_DEP_1)
	v_add_f64_e32 v[0:1], v[4:5], v[0:1]
	v_mul_f64_e32 v[4:5], s[50:51], v[218:219]
	v_fma_f64 v[8:9], v[249:250], s[18:19], -v[4:5]
	s_delay_alu instid0(VALU_DEP_1) | instskip(SKIP_1) | instid1(VALU_DEP_1)
	v_add_f64_e32 v[6:7], v[8:9], v[6:7]
	v_fma_f64 v[8:9], v[253:254], s[14:15], v[152:153]
	v_add_f64_e32 v[52:53], v[8:9], v[0:1]
	v_fma_f64 v[0:1], v[202:203], s[14:15], -v[14:15]
	s_delay_alu instid0(VALU_DEP_1) | instskip(SKIP_2) | instid1(VALU_DEP_2)
	v_add_f64_e32 v[54:55], v[0:1], v[6:7]
	v_fma_f64 v[0:1], v[88:89], s[18:19], v[38:39]
	v_mul_f64_e32 v[6:7], s[40:41], v[214:215]
	v_add_f64_e32 v[0:1], v[84:85], v[0:1]
	scratch_store_b64 off, v[6:7], off offset:464 ; 8-byte Folded Spill
	v_fma_f64 v[6:7], v[196:197], s[28:29], v[6:7]
	global_wb scope:SCOPE_SE
	s_wait_storecnt 0x0
	s_barrier_signal -1
	s_barrier_wait -1
	global_inv scope:SCOPE_SE
	v_add_f64_e32 v[6:7], v[6:7], v[0:1]
	v_fma_f64 v[0:1], v[94:95], s[18:19], -v[176:177]
	s_delay_alu instid0(VALU_DEP_1) | instskip(SKIP_1) | instid1(VALU_DEP_1)
	v_add_f64_e32 v[8:9], v[86:87], v[0:1]
	v_mul_f64_e32 v[0:1], s[40:41], v[220:221]
	v_fma_f64 v[10:11], v[200:201], s[28:29], -v[0:1]
	s_delay_alu instid0(VALU_DEP_1) | instskip(SKIP_1) | instid1(VALU_DEP_1)
	v_add_f64_e32 v[10:11], v[10:11], v[8:9]
	v_fma_f64 v[8:9], v[204:205], s[36:37], v[154:155]
	v_add_f64_e32 v[6:7], v[8:9], v[6:7]
	v_mul_f64_e32 v[8:9], s[44:45], v[222:223]
	s_delay_alu instid0(VALU_DEP_1) | instskip(NEXT) | instid1(VALU_DEP_1)
	v_fma_f64 v[12:13], v[212:213], s[36:37], -v[8:9]
	v_add_f64_e32 v[10:11], v[12:13], v[10:11]
	v_fma_f64 v[12:13], v[208:209], s[24:25], v[158:159]
	s_delay_alu instid0(VALU_DEP_1) | instskip(SKIP_1) | instid1(VALU_DEP_1)
	v_add_f64_e32 v[6:7], v[12:13], v[6:7]
	v_fma_f64 v[12:13], v[216:217], s[24:25], -v[16:17]
	v_add_f64_e32 v[12:13], v[12:13], v[10:11]
	v_mul_f64_e32 v[10:11], s[56:57], v[243:244]
	s_delay_alu instid0(VALU_DEP_1) | instskip(NEXT) | instid1(VALU_DEP_1)
	v_fma_f64 v[20:21], v[224:225], s[10:11], v[10:11]
	v_add_f64_e32 v[6:7], v[20:21], v[6:7]
	v_fma_f64 v[20:21], v[230:231], s[10:11], -v[22:23]
	s_delay_alu instid0(VALU_DEP_1) | instskip(SKIP_1) | instid1(VALU_DEP_1)
	v_add_f64_e32 v[20:21], v[20:21], v[12:13]
	v_mul_f64_e32 v[12:13], s[20:21], v[247:248]
	v_fma_f64 v[24:25], v[237:238], s[14:15], v[12:13]
	s_delay_alu instid0(VALU_DEP_1) | instskip(SKIP_1) | instid1(VALU_DEP_1)
	v_add_f64_e32 v[24:25], v[24:25], v[6:7]
	v_fma_f64 v[6:7], v[241:242], s[14:15], -v[26:27]
	v_add_f64_e32 v[20:21], v[6:7], v[20:21]
	v_mul_f64_e32 v[6:7], s[26:27], v[251:252]
	s_delay_alu instid0(VALU_DEP_1) | instskip(NEXT) | instid1(VALU_DEP_1)
	v_fma_f64 v[162:163], v[245:246], s[22:23], v[6:7]
	v_add_f64_e32 v[172:173], v[162:163], v[24:25]
	v_mul_f64_e32 v[24:25], s[26:27], v[218:219]
	s_delay_alu instid0(VALU_DEP_1) | instskip(NEXT) | instid1(VALU_DEP_1)
	v_fma_f64 v[162:163], v[249:250], s[22:23], -v[24:25]
	v_add_f64_e32 v[174:175], v[162:163], v[20:21]
	v_mul_f64_e32 v[162:163], s[46:47], v[232:233]
	s_delay_alu instid0(VALU_DEP_1) | instskip(NEXT) | instid1(VALU_DEP_1)
	v_fma_f64 v[20:21], v[253:254], s[34:35], v[162:163]
	v_add_f64_e32 v[172:173], v[20:21], v[172:173]
	v_mul_f64_e32 v[20:21], s[46:47], v[239:240]
	s_delay_alu instid0(VALU_DEP_1) | instskip(NEXT) | instid1(VALU_DEP_1)
	v_fma_f64 v[178:179], v[202:203], s[34:35], -v[20:21]
	v_add_f64_e32 v[174:175], v[178:179], v[174:175]
	s_and_saveexec_b32 s1, s0
	s_cbranch_execz .LBB0_11
; %bb.10:
	v_mul_f64_e32 v[178:179], s[36:37], v[94:95]
	s_clause 0x7
	scratch_store_b64 off, v[40:41], off offset:480
	scratch_store_b64 off, v[42:43], off offset:488
	scratch_store_b64 off, v[44:45], off offset:496
	scratch_store_b64 off, v[46:47], off offset:504
	scratch_store_b64 off, v[180:181], off offset:512
	scratch_store_b64 off, v[182:183], off offset:520
	scratch_store_b64 off, v[184:185], off offset:528
	scratch_store_b64 off, v[186:187], off offset:536
	v_mul_f64_e32 v[182:183], s[24:25], v[94:95]
	s_clause 0x1
	scratch_store_b64 off, v[120:121], off offset:544
	scratch_store_b64 off, v[122:123], off offset:576
	v_mul_f64_e32 v[120:121], s[22:23], v[94:95]
	s_mov_b32 s59, 0x3fe9895b
	s_mov_b32 s58, s40
	;; [unrolled: 1-line block ×4, first 2 shown]
	scratch_store_b64 off, v[188:189], off offset:592 ; 8-byte Folded Spill
	v_mul_f64_e32 v[188:189], s[40:41], v[90:91]
	v_mul_f64_e32 v[122:123], s[38:39], v[90:91]
	s_clause 0x3
	scratch_store_b64 off, v[106:107], off offset:600
	scratch_store_b64 off, v[206:207], off offset:608
	scratch_store_b64 off, v[104:105], off offset:560
	scratch_store_b64 off, v[102:103], off offset:568
	v_dual_mov_b32 v104, v136 :: v_dual_mov_b32 v105, v137
	v_dual_mov_b32 v102, v138 :: v_dual_mov_b32 v103, v139
	;; [unrolled: 1-line block ×4, first 2 shown]
	v_add_f64_e32 v[28:29], v[86:87], v[28:29]
	scratch_store_b64 off, v[112:113], off offset:584 ; 8-byte Folded Spill
	v_add_f64_e32 v[18:19], v[84:85], v[18:19]
	v_fma_f64 v[40:41], v[32:33], s[44:45], v[178:179]
	v_fma_f64 v[42:43], v[32:33], s[52:53], v[178:179]
	v_mul_f64_e32 v[178:179], s[34:35], v[94:95]
	v_fma_f64 v[184:185], v[32:33], s[48:49], v[182:183]
	v_fma_f64 v[182:183], v[32:33], s[38:39], v[182:183]
	;; [unrolled: 1-line block ×4, first 2 shown]
	v_fma_f64 v[188:189], v[88:89], s[28:29], -v[188:189]
	v_fma_f64 v[138:139], v[88:89], s[24:25], v[122:123]
	v_fma_f64 v[122:123], v[88:89], s[24:25], -v[122:123]
	scratch_store_b64 off, v[28:29], off offset:624 ; 8-byte Folded Spill
	v_add_f64_e32 v[40:41], v[86:87], v[40:41]
	v_fma_f64 v[44:45], v[32:33], s[42:43], v[178:179]
	v_fma_f64 v[46:47], v[32:33], s[46:47], v[178:179]
	v_mul_f64_e32 v[178:179], s[28:29], v[94:95]
	v_add_f64_e32 v[188:189], v[84:85], v[188:189]
	s_delay_alu instid0(VALU_DEP_2) | instskip(SKIP_3) | instid1(VALU_DEP_1)
	v_fma_f64 v[180:181], v[32:33], s[58:59], v[178:179]
	v_fma_f64 v[178:179], v[32:33], s[40:41], v[178:179]
	;; [unrolled: 1-line block ×3, first 2 shown]
	v_mul_f64_e32 v[120:121], s[18:19], v[94:95]
	v_add_f64_e32 v[120:121], v[176:177], v[120:121]
	v_mul_f64_e32 v[176:177], s[18:19], v[88:89]
	s_delay_alu instid0(VALU_DEP_1) | instskip(SKIP_2) | instid1(VALU_DEP_3)
	v_add_f64_e64 v[38:39], v[176:177], -v[38:39]
	v_mul_f64_e32 v[176:177], s[10:11], v[94:95]
	v_mul_f64_e32 v[94:95], s[14:15], v[94:95]
	v_add_f64_e32 v[38:39], v[84:85], v[38:39]
	s_delay_alu instid0(VALU_DEP_3) | instskip(SKIP_1) | instid1(VALU_DEP_1)
	v_add_f64_e32 v[36:37], v[36:37], v[176:177]
	v_mul_f64_e32 v[176:177], s[10:11], v[88:89]
	v_add_f64_e64 v[34:35], v[176:177], -v[34:35]
	v_add_f64_e32 v[176:177], v[92:93], v[94:95]
	v_mul_f64_e32 v[92:93], s[52:53], v[90:91]
	v_mul_f64_e32 v[94:95], s[46:47], v[90:91]
	;; [unrolled: 1-line block ×3, first 2 shown]
	s_delay_alu instid0(VALU_DEP_3) | instskip(SKIP_1) | instid1(VALU_DEP_4)
	v_fma_f64 v[206:207], v[88:89], s[36:37], v[92:93]
	v_fma_f64 v[92:93], v[88:89], s[36:37], -v[92:93]
	v_fma_f64 v[112:113], v[88:89], s[34:35], v[94:95]
	v_fma_f64 v[94:95], v[88:89], s[34:35], -v[94:95]
	v_fma_f64 v[140:141], v[88:89], s[22:23], v[90:91]
	v_fma_f64 v[90:91], v[88:89], s[22:23], -v[90:91]
	v_mul_f64_e32 v[88:89], s[14:15], v[88:89]
	v_add_f64_e32 v[206:207], v[84:85], v[206:207]
	v_add_f64_e32 v[28:29], v[84:85], v[92:93]
	;; [unrolled: 1-line block ×4, first 2 shown]
	v_mul_f64_e32 v[94:95], s[10:11], v[216:217]
	v_add_f64_e64 v[88:89], v[88:89], -v[30:31]
	v_add_f64_e32 v[30:31], v[86:87], v[42:43]
	v_add_f64_e32 v[42:43], v[86:87], v[44:45]
	;; [unrolled: 1-line block ×3, first 2 shown]
	v_mul_f64_e32 v[180:181], s[22:23], v[202:203]
	scratch_store_b64 off, v[44:45], off offset:704 ; 8-byte Folded Spill
	v_add_f64_e32 v[44:45], v[84:85], v[136:137]
	v_mul_f64_e32 v[136:137], s[40:41], v[243:244]
	scratch_store_b64 off, v[44:45], off offset:696 ; 8-byte Folded Spill
	v_add_f64_e32 v[44:45], v[86:87], v[178:179]
	;; [unrolled: 3-line block ×3, first 2 shown]
	v_add_f64_e32 v[184:185], v[84:85], v[122:123]
	v_mul_f64_e32 v[122:123], s[28:29], v[230:231]
	scratch_store_b64 off, v[44:45], off offset:688 ; 8-byte Folded Spill
	v_add_f64_e32 v[44:45], v[84:85], v[138:139]
	v_mul_f64_e32 v[138:139], s[18:19], v[241:242]
	scratch_store_b64 off, v[44:45], off offset:680 ; 8-byte Folded Spill
	v_add_f64_e32 v[44:45], v[86:87], v[182:183]
	scratch_store_b64 off, v[44:45], off offset:720 ; 8-byte Folded Spill
	v_add_f64_e32 v[44:45], v[86:87], v[186:187]
	v_add_f64_e32 v[186:187], v[84:85], v[90:91]
	v_mul_f64_e32 v[90:91], s[46:47], v[226:227]
	scratch_store_b64 off, v[44:45], off offset:672 ; 8-byte Folded Spill
	v_add_f64_e32 v[44:45], v[84:85], v[140:141]
	v_mul_f64_e32 v[140:141], s[50:51], v[247:248]
	scratch_store_b64 off, v[44:45], off offset:664 ; 8-byte Folded Spill
	v_add_f64_e32 v[44:45], v[86:87], v[32:33]
	v_add_f64_e32 v[32:33], v[86:87], v[120:121]
	v_mul_f64_e32 v[120:121], s[56:57], v[234:235]
	scratch_store_b64 off, v[32:33], off offset:728 ; 8-byte Folded Spill
	v_add_f64_e32 v[32:33], v[84:85], v[34:35]
	;; [unrolled: 4-line block ×3, first 2 shown]
	scratch_store_b64 off, v[18:19], off offset:640 ; 8-byte Folded Spill
	v_add_f64_e32 v[18:19], v[86:87], v[46:47]
	v_add_f64_e32 v[46:47], v[86:87], v[36:37]
	v_mul_f64_e32 v[88:89], s[34:35], v[212:213]
	scratch_store_b64 off, v[34:35], off offset:648 ; 8-byte Folded Spill
	v_mul_f64_e32 v[34:35], s[14:15], v[200:201]
	v_fma_f64 v[86:87], v[222:223], s[42:43], v[88:89]
	s_delay_alu instid0(VALU_DEP_2) | instskip(SKIP_1) | instid1(VALU_DEP_2)
	v_fma_f64 v[36:37], v[220:221], s[20:21], v[34:35]
	v_fma_f64 v[34:35], v[220:221], s[54:55], v[34:35]
	v_add_f64_e32 v[36:37], v[36:37], v[40:41]
	v_mul_f64_e32 v[40:41], s[54:55], v[214:215]
	s_delay_alu instid0(VALU_DEP_3) | instskip(NEXT) | instid1(VALU_DEP_3)
	v_add_f64_e32 v[30:31], v[34:35], v[30:31]
	v_add_f64_e32 v[36:37], v[86:87], v[36:37]
	s_delay_alu instid0(VALU_DEP_3) | instskip(SKIP_3) | instid1(VALU_DEP_4)
	v_fma_f64 v[84:85], v[196:197], s[14:15], v[40:41]
	v_fma_f64 v[86:87], v[204:205], s[34:35], v[90:91]
	v_fma_f64 v[34:35], v[196:197], s[14:15], -v[40:41]
	v_mul_f64_e32 v[40:41], s[22:23], v[212:213]
	v_add_f64_e32 v[84:85], v[84:85], v[206:207]
	s_delay_alu instid0(VALU_DEP_3) | instskip(SKIP_1) | instid1(VALU_DEP_3)
	v_add_f64_e32 v[28:29], v[34:35], v[28:29]
	v_fma_f64 v[34:35], v[222:223], s[46:47], v[88:89]
	v_add_f64_e32 v[84:85], v[86:87], v[84:85]
	v_fma_f64 v[86:87], v[228:229], s[12:13], v[94:95]
	s_delay_alu instid0(VALU_DEP_3) | instskip(SKIP_1) | instid1(VALU_DEP_3)
	v_add_f64_e32 v[30:31], v[34:35], v[30:31]
	v_fma_f64 v[34:35], v[204:205], s[34:35], -v[90:91]
	v_add_f64_e32 v[36:37], v[86:87], v[36:37]
	v_fma_f64 v[86:87], v[208:209], s[10:11], v[120:121]
	s_delay_alu instid0(VALU_DEP_3) | instskip(SKIP_1) | instid1(VALU_DEP_3)
	v_add_f64_e32 v[28:29], v[34:35], v[28:29]
	v_fma_f64 v[34:35], v[228:229], s[56:57], v[94:95]
	v_add_f64_e32 v[84:85], v[86:87], v[84:85]
	v_fma_f64 v[86:87], v[198:199], s[58:59], v[122:123]
	s_delay_alu instid0(VALU_DEP_3) | instskip(SKIP_2) | instid1(VALU_DEP_4)
	v_add_f64_e32 v[30:31], v[34:35], v[30:31]
	v_fma_f64 v[34:35], v[208:209], s[10:11], -v[120:121]
	v_mul_f64_e32 v[120:121], s[28:29], v[216:217]
	v_add_f64_e32 v[36:37], v[86:87], v[36:37]
	v_fma_f64 v[86:87], v[224:225], s[28:29], v[136:137]
	s_delay_alu instid0(VALU_DEP_4) | instskip(SKIP_2) | instid1(VALU_DEP_4)
	v_add_f64_e32 v[28:29], v[34:35], v[28:29]
	v_fma_f64 v[34:35], v[198:199], s[40:41], v[122:123]
	v_mul_f64_e32 v[122:123], s[58:59], v[234:235]
	v_add_f64_e32 v[84:85], v[86:87], v[84:85]
	v_fma_f64 v[86:87], v[210:211], s[30:31], v[138:139]
	s_delay_alu instid0(VALU_DEP_4) | instskip(SKIP_2) | instid1(VALU_DEP_4)
	v_add_f64_e32 v[30:31], v[34:35], v[30:31]
	v_fma_f64 v[34:35], v[224:225], s[28:29], -v[136:137]
	v_mul_f64_e32 v[136:137], s[14:15], v[230:231]
	v_add_f64_e32 v[36:37], v[86:87], v[36:37]
	v_fma_f64 v[86:87], v[237:238], s[18:19], v[140:141]
	s_delay_alu instid0(VALU_DEP_4) | instskip(SKIP_2) | instid1(VALU_DEP_4)
	v_add_f64_e32 v[28:29], v[34:35], v[28:29]
	v_fma_f64 v[34:35], v[210:211], s[50:51], v[138:139]
	v_mul_f64_e32 v[138:139], s[20:21], v[243:244]
	v_add_f64_e32 v[84:85], v[86:87], v[84:85]
	v_fma_f64 v[86:87], v[218:219], s[48:49], v[176:177]
	s_delay_alu instid0(VALU_DEP_4) | instskip(SKIP_2) | instid1(VALU_DEP_4)
	;; [unrolled: 12-line block ×3, first 2 shown]
	v_add_f64_e32 v[30:31], v[34:35], v[30:31]
	v_fma_f64 v[34:35], v[245:246], s[24:25], -v[178:179]
	v_mul_f64_e32 v[178:179], s[10:11], v[249:250]
	v_add_f64_e32 v[86:87], v[86:87], v[36:37]
	v_mul_f64_e32 v[36:37], s[60:61], v[232:233]
	s_delay_alu instid0(VALU_DEP_4) | instskip(SKIP_2) | instid1(VALU_DEP_4)
	v_add_f64_e32 v[28:29], v[34:35], v[28:29]
	v_fma_f64 v[34:35], v[239:240], s[60:61], v[180:181]
	v_mul_f64_e32 v[180:181], s[56:57], v[251:252]
	v_fma_f64 v[182:183], v[253:254], s[22:23], v[36:37]
	v_fma_f64 v[36:37], v[253:254], s[22:23], -v[36:37]
	s_delay_alu instid0(VALU_DEP_4) | instskip(SKIP_1) | instid1(VALU_DEP_4)
	v_add_f64_e32 v[90:91], v[34:35], v[30:31]
	v_mul_f64_e32 v[34:35], s[50:51], v[214:215]
	v_add_f64_e32 v[84:85], v[182:183], v[84:85]
	s_delay_alu instid0(VALU_DEP_4) | instskip(SKIP_3) | instid1(VALU_DEP_3)
	v_add_f64_e32 v[88:89], v[36:37], v[28:29]
	v_mul_f64_e32 v[28:29], s[18:19], v[200:201]
	v_mul_f64_e32 v[182:183], s[24:25], v[202:203]
	v_fma_f64 v[36:37], v[196:197], s[18:19], v[34:35]
	v_fma_f64 v[30:31], v[220:221], s[30:31], v[28:29]
	;; [unrolled: 1-line block ×3, first 2 shown]
	s_delay_alu instid0(VALU_DEP_3) | instskip(NEXT) | instid1(VALU_DEP_3)
	v_add_f64_e32 v[36:37], v[36:37], v[92:93]
	v_add_f64_e32 v[30:31], v[30:31], v[42:43]
	v_fma_f64 v[42:43], v[222:223], s[60:61], v[40:41]
	s_delay_alu instid0(VALU_DEP_4)
	v_add_f64_e32 v[18:19], v[28:29], v[18:19]
	v_fma_f64 v[28:29], v[196:197], s[18:19], -v[34:35]
	v_fma_f64 v[34:35], v[222:223], s[26:27], v[40:41]
	v_mul_f64_e32 v[40:41], s[28:29], v[204:205]
	v_add_f64_e32 v[30:31], v[42:43], v[30:31]
	v_mul_f64_e32 v[42:43], s[26:27], v[226:227]
	v_add_f64_e32 v[28:29], v[28:29], v[112:113]
	v_add_f64_e32 v[18:19], v[34:35], v[18:19]
	v_mul_f64_e32 v[112:113], s[36:37], v[208:209]
	s_delay_alu instid0(VALU_DEP_4)
	v_fma_f64 v[92:93], v[204:205], s[22:23], v[42:43]
	v_fma_f64 v[34:35], v[204:205], s[22:23], -v[42:43]
	scratch_load_b64 v[42:43], off, off offset:456 th:TH_LOAD_LU ; 8-byte Folded Reload
	v_add_f64_e32 v[36:37], v[92:93], v[36:37]
	v_fma_f64 v[92:93], v[228:229], s[40:41], v[120:121]
	v_add_f64_e32 v[28:29], v[34:35], v[28:29]
	v_fma_f64 v[34:35], v[228:229], s[58:59], v[120:121]
	scratch_load_b64 v[120:121], off, off offset:472 th:TH_LOAD_LU ; 8-byte Folded Reload
	v_add_f64_e32 v[30:31], v[92:93], v[30:31]
	v_fma_f64 v[92:93], v[208:209], s[28:29], v[122:123]
	v_add_f64_e32 v[18:19], v[34:35], v[18:19]
	v_fma_f64 v[34:35], v[208:209], s[28:29], -v[122:123]
	v_mul_f64_e32 v[122:123], s[34:35], v[224:225]
	s_delay_alu instid0(VALU_DEP_4) | instskip(SKIP_1) | instid1(VALU_DEP_4)
	v_add_f64_e32 v[36:37], v[92:93], v[36:37]
	v_fma_f64 v[92:93], v[198:199], s[54:55], v[136:137]
	v_add_f64_e32 v[28:29], v[34:35], v[28:29]
	v_fma_f64 v[34:35], v[198:199], s[20:21], v[136:137]
	v_add_f64_e64 v[122:123], v[122:123], -v[144:145]
	v_mul_f64_e32 v[136:137], s[24:25], v[241:242]
	v_mul_f64_e32 v[144:145], s[18:19], v[216:217]
	v_add_f64_e32 v[30:31], v[92:93], v[30:31]
	v_fma_f64 v[92:93], v[224:225], s[14:15], v[138:139]
	v_add_f64_e32 v[18:19], v[34:35], v[18:19]
	v_fma_f64 v[34:35], v[224:225], s[14:15], -v[138:139]
	v_add_f64_e32 v[2:3], v[2:3], v[136:137]
	v_mul_f64_e32 v[136:137], s[58:59], v[251:252]
	v_mul_f64_e32 v[138:139], s[10:11], v[202:203]
	v_add_f64_e32 v[36:37], v[92:93], v[36:37]
	v_fma_f64 v[92:93], v[210:211], s[44:45], v[140:141]
	v_add_f64_e32 v[28:29], v[34:35], v[28:29]
	v_fma_f64 v[34:35], v[210:211], s[52:53], v[140:141]
	v_mul_f64_e32 v[140:141], s[56:57], v[232:233]
	s_delay_alu instid0(VALU_DEP_4) | instskip(SKIP_1) | instid1(VALU_DEP_4)
	v_add_f64_e32 v[30:31], v[92:93], v[30:31]
	v_fma_f64 v[92:93], v[237:238], s[36:37], v[176:177]
	v_add_f64_e32 v[18:19], v[34:35], v[18:19]
	v_fma_f64 v[34:35], v[237:238], s[36:37], -v[176:177]
	v_mul_f64_e32 v[176:177], s[40:41], v[232:233]
	s_delay_alu instid0(VALU_DEP_4) | instskip(SKIP_1) | instid1(VALU_DEP_4)
	v_add_f64_e32 v[36:37], v[92:93], v[36:37]
	v_fma_f64 v[92:93], v[218:219], s[12:13], v[178:179]
	v_add_f64_e32 v[28:29], v[34:35], v[28:29]
	v_fma_f64 v[34:35], v[218:219], s[56:57], v[178:179]
	v_mul_f64_e32 v[178:179], s[14:15], v[212:213]
	s_delay_alu instid0(VALU_DEP_4) | instskip(SKIP_1) | instid1(VALU_DEP_4)
	v_add_f64_e32 v[30:31], v[92:93], v[30:31]
	v_fma_f64 v[92:93], v[245:246], s[10:11], v[180:181]
	v_add_f64_e32 v[18:19], v[34:35], v[18:19]
	v_fma_f64 v[34:35], v[245:246], s[10:11], -v[180:181]
	v_fma_f64 v[180:181], v[222:223], s[20:21], v[178:179]
	v_fma_f64 v[178:179], v[222:223], s[54:55], v[178:179]
	s_wait_loadcnt 0x1
	v_add_f64_e64 v[40:41], v[40:41], -v[42:43]
	v_mul_f64_e32 v[42:43], s[36:37], v[216:217]
	v_add_f64_e32 v[36:37], v[92:93], v[36:37]
	v_fma_f64 v[92:93], v[239:240], s[48:49], v[182:183]
	v_add_f64_e32 v[28:29], v[34:35], v[28:29]
	v_fma_f64 v[34:35], v[239:240], s[38:39], v[182:183]
	v_add_f64_e32 v[42:43], v[156:157], v[42:43]
	s_wait_loadcnt 0x0
	v_add_f64_e64 v[112:113], v[112:113], -v[120:121]
	v_mul_f64_e32 v[120:121], s[34:35], v[230:231]
	v_mul_f64_e32 v[156:157], s[60:61], v[247:248]
	v_add_f64_e32 v[94:95], v[92:93], v[30:31]
	v_mul_f64_e32 v[30:31], s[38:39], v[232:233]
	v_mul_f64_e32 v[232:233], s[50:51], v[232:233]
	v_add_f64_e32 v[120:121], v[160:161], v[120:121]
	v_mul_f64_e32 v[160:161], s[20:21], v[251:252]
	s_delay_alu instid0(VALU_DEP_4) | instskip(SKIP_1) | instid1(VALU_DEP_2)
	v_fma_f64 v[92:93], v[253:254], s[24:25], v[30:31]
	v_fma_f64 v[30:31], v[253:254], s[24:25], -v[30:31]
	v_add_f64_e32 v[92:93], v[92:93], v[36:37]
	v_add_f64_e32 v[36:37], v[34:35], v[18:19]
	s_delay_alu instid0(VALU_DEP_3) | instskip(SKIP_3) | instid1(VALU_DEP_2)
	v_add_f64_e32 v[34:35], v[30:31], v[28:29]
	scratch_load_b64 v[30:31], off, off offset:440 th:TH_LOAD_LU ; 8-byte Folded Reload
	v_mul_f64_e32 v[18:19], s[22:23], v[200:201]
	v_mul_f64_e32 v[28:29], s[22:23], v[196:197]
	v_add_f64_e32 v[18:19], v[142:143], v[18:19]
	v_mul_f64_e32 v[142:143], s[10:11], v[212:213]
	s_delay_alu instid0(VALU_DEP_2) | instskip(SKIP_4) | instid1(VALU_DEP_2)
	v_add_f64_e32 v[18:19], v[18:19], v[46:47]
	v_mul_f64_e32 v[46:47], s[30:31], v[243:244]
	s_wait_loadcnt 0x0
	v_add_f64_e64 v[28:29], v[28:29], -v[30:31]
	v_mul_f64_e32 v[30:31], s[28:29], v[212:213]
	v_add_f64_e32 v[28:29], v[28:29], v[32:33]
	s_delay_alu instid0(VALU_DEP_2) | instskip(SKIP_2) | instid1(VALU_DEP_4)
	v_add_f64_e32 v[30:31], v[150:151], v[30:31]
	v_mul_f64_e32 v[32:33], s[24:25], v[237:238]
	v_mul_f64_e32 v[150:151], s[36:37], v[230:231]
	v_add_f64_e32 v[28:29], v[40:41], v[28:29]
	s_delay_alu instid0(VALU_DEP_4)
	v_add_f64_e32 v[18:19], v[30:31], v[18:19]
	v_mul_f64_e32 v[30:31], s[18:19], v[249:250]
	v_add_f64_e64 v[32:33], v[32:33], -v[146:147]
	v_mul_f64_e32 v[40:41], s[14:15], v[202:203]
	v_mul_f64_e32 v[146:147], s[56:57], v[226:227]
	v_add_f64_e32 v[28:29], v[112:113], v[28:29]
	v_add_f64_e32 v[18:19], v[42:43], v[18:19]
	;; [unrolled: 1-line block ×3, first 2 shown]
	v_mul_f64_e32 v[30:31], s[18:19], v[245:246]
	v_add_f64_e32 v[14:15], v[14:15], v[40:41]
	v_mul_f64_e32 v[40:41], s[14:15], v[216:217]
	v_mul_f64_e32 v[42:43], s[54:55], v[234:235]
	;; [unrolled: 1-line block ×3, first 2 shown]
	v_add_f64_e32 v[28:29], v[122:123], v[28:29]
	v_add_f64_e32 v[18:19], v[120:121], v[18:19]
	v_mul_f64_e32 v[120:121], s[46:47], v[247:248]
	v_add_f64_e64 v[30:31], v[30:31], -v[148:149]
	v_mul_f64_e32 v[122:123], s[28:29], v[249:250]
	v_mul_f64_e32 v[148:149], s[30:31], v[234:235]
	v_add_f64_e32 v[2:3], v[2:3], v[18:19]
	v_add_f64_e32 v[18:19], v[32:33], v[28:29]
	v_mul_f64_e32 v[28:29], s[14:15], v[253:254]
	v_mul_f64_e32 v[32:33], s[24:25], v[212:213]
	s_delay_alu instid0(VALU_DEP_4) | instskip(NEXT) | instid1(VALU_DEP_4)
	v_add_f64_e32 v[2:3], v[4:5], v[2:3]
	v_add_f64_e32 v[18:19], v[30:31], v[18:19]
	v_mul_f64_e32 v[30:31], s[10:11], v[230:231]
	v_add_f64_e64 v[28:29], v[28:29], -v[152:153]
	v_mul_f64_e32 v[152:153], s[52:53], v[243:244]
	v_add_f64_e32 v[4:5], v[14:15], v[2:3]
	v_mul_f64_e32 v[14:15], s[28:29], v[200:201]
	v_add_f64_e32 v[22:23], v[22:23], v[30:31]
	;; [unrolled: 2-line block ×3, first 2 shown]
	scratch_load_b64 v[18:19], off, off offset:464 th:TH_LOAD_LU ; 8-byte Folded Reload
	v_mul_f64_e32 v[28:29], s[24:25], v[216:217]
	v_add_f64_e32 v[0:1], v[0:1], v[14:15]
	v_mul_f64_e32 v[14:15], s[28:29], v[196:197]
	v_add_f64_e64 v[10:11], v[30:31], -v[10:11]
	v_mul_f64_e32 v[30:31], s[14:15], v[241:242]
	v_add_f64_e32 v[16:17], v[16:17], v[28:29]
	v_mul_f64_e32 v[28:29], s[24:25], v[208:209]
	s_delay_alu instid0(VALU_DEP_3)
	v_add_f64_e32 v[26:27], v[26:27], v[30:31]
	scratch_load_b64 v[30:31], off, off offset:728 th:TH_LOAD_LU ; 8-byte Folded Reload
	v_add_f64_e64 v[28:29], v[28:29], -v[158:159]
	v_mul_f64_e32 v[158:159], s[14:15], v[249:250]
	s_wait_loadcnt 0x1
	v_add_f64_e64 v[14:15], v[14:15], -v[18:19]
	v_mul_f64_e32 v[18:19], s[36:37], v[212:213]
	s_delay_alu instid0(VALU_DEP_2) | instskip(NEXT) | instid1(VALU_DEP_2)
	v_add_f64_e32 v[14:15], v[14:15], v[38:39]
	v_add_f64_e32 v[8:9], v[8:9], v[18:19]
	v_mul_f64_e32 v[18:19], s[36:37], v[204:205]
	v_mul_f64_e32 v[38:39], s[48:49], v[226:227]
	s_wait_loadcnt 0x0
	v_add_f64_e32 v[0:1], v[0:1], v[30:31]
	v_mul_f64_e32 v[30:31], s[14:15], v[237:238]
	s_delay_alu instid0(VALU_DEP_4) | instskip(SKIP_1) | instid1(VALU_DEP_4)
	v_add_f64_e64 v[18:19], v[18:19], -v[154:155]
	v_mul_f64_e32 v[154:155], s[22:23], v[241:242]
	v_add_f64_e32 v[0:1], v[8:9], v[0:1]
	s_delay_alu instid0(VALU_DEP_4) | instskip(NEXT) | instid1(VALU_DEP_4)
	v_add_f64_e64 v[12:13], v[30:31], -v[12:13]
	v_add_f64_e32 v[8:9], v[18:19], v[14:15]
	v_mul_f64_e32 v[14:15], s[22:23], v[249:250]
	v_mul_f64_e32 v[30:31], s[52:53], v[214:215]
	v_fma_f64 v[18:19], v[222:223], s[56:57], v[142:143]
	v_fma_f64 v[142:143], v[222:223], s[12:13], v[142:143]
	v_add_f64_e32 v[0:1], v[16:17], v[0:1]
	v_mul_f64_e32 v[16:17], s[22:23], v[245:246]
	v_add_f64_e32 v[8:9], v[28:29], v[8:9]
	v_add_f64_e32 v[14:15], v[24:25], v[14:15]
	v_mul_f64_e32 v[28:29], s[42:43], v[214:215]
	v_mul_f64_e32 v[24:25], s[48:49], v[214:215]
	v_add_f64_e32 v[0:1], v[22:23], v[0:1]
	v_add_f64_e64 v[6:7], v[16:17], -v[6:7]
	v_add_f64_e32 v[8:9], v[10:11], v[8:9]
	v_mul_f64_e32 v[10:11], s[34:35], v[202:203]
	scratch_load_b64 v[16:17], off, off offset:720 th:TH_LOAD_LU ; 8-byte Folded Reload
	v_mul_f64_e32 v[22:23], s[24:25], v[200:201]
	v_add_f64_e32 v[0:1], v[26:27], v[0:1]
	v_mul_f64_e32 v[26:27], s[34:35], v[200:201]
	v_add_f64_e32 v[8:9], v[12:13], v[8:9]
	v_add_f64_e32 v[10:11], v[20:21], v[10:11]
	scratch_load_b64 v[20:21], off, off offset:712 th:TH_LOAD_LU ; 8-byte Folded Reload
	v_mul_f64_e32 v[12:13], s[34:35], v[253:254]
	v_add_f64_e32 v[0:1], v[14:15], v[0:1]
	v_fma_f64 v[14:15], v[222:223], s[48:49], v[32:33]
	v_add_f64_e32 v[6:7], v[6:7], v[8:9]
	v_fma_f64 v[32:33], v[222:223], s[38:39], v[32:33]
	v_add_f64_e64 v[12:13], v[12:13], -v[162:163]
	v_mul_f64_e32 v[162:163], s[28:29], v[202:203]
	v_add_f64_e32 v[8:9], v[10:11], v[0:1]
	v_mul_f64_e32 v[0:1], s[36:37], v[200:201]
	s_delay_alu instid0(VALU_DEP_4) | instskip(SKIP_2) | instid1(VALU_DEP_4)
	v_add_f64_e32 v[6:7], v[12:13], v[6:7]
	v_fma_f64 v[12:13], v[196:197], s[36:37], -v[30:31]
	v_fma_f64 v[30:31], v[196:197], s[36:37], v[30:31]
	v_fma_f64 v[10:11], v[220:221], s[52:53], v[0:1]
	;; [unrolled: 1-line block ×3, first 2 shown]
	s_delay_alu instid0(VALU_DEP_4) | instskip(NEXT) | instid1(VALU_DEP_3)
	v_add_f64_e32 v[12:13], v[12:13], v[186:187]
	v_add_f64_e32 v[10:11], v[10:11], v[44:45]
	v_mul_f64_e32 v[44:45], s[18:19], v[230:231]
	s_delay_alu instid0(VALU_DEP_2) | instskip(SKIP_1) | instid1(VALU_DEP_1)
	v_add_f64_e32 v[10:11], v[14:15], v[10:11]
	v_fma_f64 v[14:15], v[204:205], s[24:25], -v[38:39]
	v_add_f64_e32 v[12:13], v[14:15], v[12:13]
	v_fma_f64 v[14:15], v[228:229], s[54:55], v[40:41]
	s_delay_alu instid0(VALU_DEP_1) | instskip(SKIP_1) | instid1(VALU_DEP_1)
	v_add_f64_e32 v[10:11], v[14:15], v[10:11]
	v_fma_f64 v[14:15], v[208:209], s[14:15], -v[42:43]
	v_add_f64_e32 v[12:13], v[14:15], v[12:13]
	v_fma_f64 v[14:15], v[198:199], s[30:31], v[44:45]
	s_delay_alu instid0(VALU_DEP_1) | instskip(SKIP_1) | instid1(VALU_DEP_1)
	;; [unrolled: 5-line block ×5, first 2 shown]
	v_add_f64_e32 v[12:13], v[12:13], v[10:11]
	v_fma_f64 v[10:11], v[253:254], s[10:11], -v[140:141]
	v_add_f64_e32 v[10:11], v[10:11], v[14:15]
	v_fma_f64 v[14:15], v[220:221], s[42:43], v[26:27]
	v_fma_f64 v[26:27], v[220:221], s[46:47], v[26:27]
	s_wait_loadcnt 0x1
	s_delay_alu instid0(VALU_DEP_2) | instskip(SKIP_2) | instid1(VALU_DEP_3)
	v_add_f64_e32 v[14:15], v[14:15], v[16:17]
	v_fma_f64 v[16:17], v[196:197], s[34:35], -v[28:29]
	v_fma_f64 v[28:29], v[196:197], s[34:35], v[28:29]
	v_add_f64_e32 v[14:15], v[18:19], v[14:15]
	v_fma_f64 v[18:19], v[228:229], s[30:31], v[144:145]
	s_delay_alu instid0(VALU_DEP_4) | instskip(NEXT) | instid1(VALU_DEP_2)
	v_add_f64_e32 v[16:17], v[16:17], v[184:185]
	v_add_f64_e32 v[14:15], v[18:19], v[14:15]
	v_fma_f64 v[18:19], v[204:205], s[10:11], -v[146:147]
	s_delay_alu instid0(VALU_DEP_1) | instskip(SKIP_1) | instid1(VALU_DEP_1)
	v_add_f64_e32 v[16:17], v[18:19], v[16:17]
	v_fma_f64 v[18:19], v[208:209], s[18:19], -v[148:149]
	v_add_f64_e32 v[16:17], v[18:19], v[16:17]
	v_fma_f64 v[18:19], v[198:199], s[52:53], v[150:151]
	s_delay_alu instid0(VALU_DEP_1) | instskip(SKIP_1) | instid1(VALU_DEP_1)
	v_add_f64_e32 v[14:15], v[18:19], v[14:15]
	v_fma_f64 v[18:19], v[224:225], s[36:37], -v[152:153]
	v_add_f64_e32 v[16:17], v[18:19], v[16:17]
	v_fma_f64 v[18:19], v[210:211], s[60:61], v[154:155]
	;; [unrolled: 5-line block ×5, first 2 shown]
	v_fma_f64 v[22:23], v[220:221], s[38:39], v[22:23]
	s_wait_loadcnt 0x0
	s_delay_alu instid0(VALU_DEP_2) | instskip(SKIP_2) | instid1(VALU_DEP_3)
	v_add_f64_e32 v[18:19], v[18:19], v[20:21]
	v_fma_f64 v[20:21], v[196:197], s[24:25], -v[24:25]
	v_fma_f64 v[24:25], v[196:197], s[24:25], v[24:25]
	v_add_f64_e32 v[18:19], v[180:181], v[18:19]
	v_mul_f64_e32 v[180:181], s[20:21], v[226:227]
	s_delay_alu instid0(VALU_DEP_4) | instskip(NEXT) | instid1(VALU_DEP_2)
	v_add_f64_e32 v[20:21], v[20:21], v[188:189]
	v_fma_f64 v[182:183], v[204:205], s[14:15], -v[180:181]
	s_delay_alu instid0(VALU_DEP_1) | instskip(SKIP_1) | instid1(VALU_DEP_1)
	v_add_f64_e32 v[20:21], v[182:183], v[20:21]
	v_mul_f64_e32 v[182:183], s[34:35], v[216:217]
	v_fma_f64 v[184:185], v[228:229], s[46:47], v[182:183]
	s_delay_alu instid0(VALU_DEP_1) | instskip(SKIP_1) | instid1(VALU_DEP_1)
	v_add_f64_e32 v[18:19], v[184:185], v[18:19]
	v_mul_f64_e32 v[184:185], s[46:47], v[234:235]
	v_fma_f64 v[186:187], v[208:209], s[34:35], -v[184:185]
	s_delay_alu instid0(VALU_DEP_1) | instskip(SKIP_1) | instid1(VALU_DEP_1)
	v_add_f64_e32 v[20:21], v[186:187], v[20:21]
	v_mul_f64_e32 v[186:187], s[22:23], v[230:231]
	v_fma_f64 v[188:189], v[198:199], s[60:61], v[186:187]
	s_delay_alu instid0(VALU_DEP_1) | instskip(SKIP_1) | instid1(VALU_DEP_1)
	v_add_f64_e32 v[18:19], v[188:189], v[18:19]
	v_mul_f64_e32 v[188:189], s[60:61], v[243:244]
	v_fma_f64 v[206:207], v[224:225], s[22:23], -v[188:189]
	s_delay_alu instid0(VALU_DEP_1) | instskip(SKIP_1) | instid1(VALU_DEP_1)
	v_add_f64_e32 v[20:21], v[206:207], v[20:21]
	v_mul_f64_e32 v[206:207], s[10:11], v[241:242]
	v_fma_f64 v[214:215], v[210:211], s[12:13], v[206:207]
	s_delay_alu instid0(VALU_DEP_1) | instskip(SKIP_2) | instid1(VALU_DEP_2)
	v_add_f64_e32 v[18:19], v[214:215], v[18:19]
	v_mul_f64_e32 v[214:215], s[12:13], v[247:248]
	v_mul_f64_e32 v[247:248], s[18:19], v[202:203]
	v_fma_f64 v[226:227], v[237:238], s[10:11], -v[214:215]
	s_delay_alu instid0(VALU_DEP_1) | instskip(SKIP_1) | instid1(VALU_DEP_1)
	v_add_f64_e32 v[20:21], v[226:227], v[20:21]
	v_mul_f64_e32 v[226:227], s[36:37], v[249:250]
	v_fma_f64 v[234:235], v[218:219], s[52:53], v[226:227]
	s_delay_alu instid0(VALU_DEP_1) | instskip(SKIP_1) | instid1(VALU_DEP_1)
	v_add_f64_e32 v[18:19], v[234:235], v[18:19]
	v_mul_f64_e32 v[234:235], s[52:53], v[251:252]
	v_fma_f64 v[243:244], v[245:246], s[36:37], -v[234:235]
	s_delay_alu instid0(VALU_DEP_1) | instskip(SKIP_1) | instid1(VALU_DEP_1)
	v_add_f64_e32 v[243:244], v[243:244], v[20:21]
	v_fma_f64 v[20:21], v[239:240], s[50:51], v[247:248]
	v_add_f64_e32 v[20:21], v[20:21], v[18:19]
	v_fma_f64 v[18:19], v[253:254], s[18:19], -v[232:233]
	s_delay_alu instid0(VALU_DEP_1)
	v_add_f64_e32 v[18:19], v[18:19], v[243:244]
	scratch_load_b64 v[243:244], off, off offset:704 th:TH_LOAD_LU ; 8-byte Folded Reload
	s_wait_loadcnt 0x0
	v_add_f64_e32 v[22:23], v[22:23], v[243:244]
	scratch_load_b64 v[243:244], off, off offset:696 th:TH_LOAD_LU ; 8-byte Folded Reload
	v_add_f64_e32 v[22:23], v[178:179], v[22:23]
	v_fma_f64 v[178:179], v[204:205], s[14:15], v[180:181]
	v_fma_f64 v[180:181], v[253:254], s[18:19], v[232:233]
	s_wait_loadcnt 0x0
	v_add_f64_e32 v[24:25], v[24:25], v[243:244]
	s_delay_alu instid0(VALU_DEP_1) | instskip(SKIP_1) | instid1(VALU_DEP_1)
	v_add_f64_e32 v[24:25], v[178:179], v[24:25]
	v_fma_f64 v[178:179], v[228:229], s[42:43], v[182:183]
	v_add_f64_e32 v[22:23], v[178:179], v[22:23]
	v_fma_f64 v[178:179], v[208:209], s[34:35], v[184:185]
	s_delay_alu instid0(VALU_DEP_1) | instskip(SKIP_1) | instid1(VALU_DEP_1)
	v_add_f64_e32 v[24:25], v[178:179], v[24:25]
	v_fma_f64 v[178:179], v[198:199], s[26:27], v[186:187]
	v_add_f64_e32 v[22:23], v[178:179], v[22:23]
	v_fma_f64 v[178:179], v[224:225], s[22:23], v[188:189]
	;; [unrolled: 5-line block ×4, first 2 shown]
	s_delay_alu instid0(VALU_DEP_1) | instskip(SKIP_1) | instid1(VALU_DEP_1)
	v_add_f64_e32 v[178:179], v[178:179], v[24:25]
	v_fma_f64 v[24:25], v[239:240], s[30:31], v[247:248]
	v_add_f64_e32 v[24:25], v[24:25], v[22:23]
	s_delay_alu instid0(VALU_DEP_3)
	v_add_f64_e32 v[22:23], v[180:181], v[178:179]
	scratch_load_b64 v[178:179], off, off offset:688 th:TH_LOAD_LU ; 8-byte Folded Reload
	s_wait_loadcnt 0x0
	v_add_f64_e32 v[26:27], v[26:27], v[178:179]
	scratch_load_b64 v[178:179], off, off offset:680 th:TH_LOAD_LU ; 8-byte Folded Reload
	v_add_f64_e32 v[26:27], v[142:143], v[26:27]
	v_fma_f64 v[142:143], v[204:205], s[10:11], v[146:147]
	s_wait_loadcnt 0x0
	v_add_f64_e32 v[28:29], v[28:29], v[178:179]
	s_delay_alu instid0(VALU_DEP_1) | instskip(SKIP_2) | instid1(VALU_DEP_2)
	v_add_f64_e32 v[28:29], v[142:143], v[28:29]
	v_fma_f64 v[142:143], v[228:229], s[50:51], v[144:145]
	v_fma_f64 v[144:145], v[253:254], s[28:29], v[176:177]
	v_add_f64_e32 v[26:27], v[142:143], v[26:27]
	v_fma_f64 v[142:143], v[208:209], s[18:19], v[148:149]
	s_delay_alu instid0(VALU_DEP_1) | instskip(SKIP_1) | instid1(VALU_DEP_1)
	v_add_f64_e32 v[28:29], v[142:143], v[28:29]
	v_fma_f64 v[142:143], v[198:199], s[44:45], v[150:151]
	v_add_f64_e32 v[26:27], v[142:143], v[26:27]
	v_fma_f64 v[142:143], v[224:225], s[36:37], v[152:153]
	s_delay_alu instid0(VALU_DEP_1) | instskip(SKIP_1) | instid1(VALU_DEP_1)
	v_add_f64_e32 v[28:29], v[142:143], v[28:29]
	;; [unrolled: 5-line block ×4, first 2 shown]
	v_fma_f64 v[28:29], v[239:240], s[58:59], v[162:163]
	v_add_f64_e32 v[28:29], v[28:29], v[26:27]
	s_delay_alu instid0(VALU_DEP_3) | instskip(SKIP_3) | instid1(VALU_DEP_1)
	v_add_f64_e32 v[26:27], v[144:145], v[142:143]
	scratch_load_b64 v[142:143], off, off offset:672 th:TH_LOAD_LU ; 8-byte Folded Reload
	s_wait_loadcnt 0x0
	v_add_f64_e32 v[0:1], v[0:1], v[142:143]
	v_add_f64_e32 v[0:1], v[32:33], v[0:1]
	v_fma_f64 v[32:33], v[228:229], s[20:21], v[40:41]
	v_fma_f64 v[40:41], v[253:254], s[10:11], v[140:141]
	s_delay_alu instid0(VALU_DEP_2)
	v_add_f64_e32 v[0:1], v[32:33], v[0:1]
	scratch_load_b64 v[32:33], off, off offset:664 th:TH_LOAD_LU ; 8-byte Folded Reload
	s_wait_loadcnt 0x0
	v_add_f64_e32 v[30:31], v[30:31], v[32:33]
	v_fma_f64 v[32:33], v[204:205], s[24:25], v[38:39]
	v_fma_f64 v[38:39], v[208:209], s[14:15], v[42:43]
	scratch_load_b64 v[42:43], off, off offset:360 th:TH_LOAD_LU ; 8-byte Folded Reload
	v_add_f64_e32 v[30:31], v[32:33], v[30:31]
	v_fma_f64 v[32:33], v[198:199], s[50:51], v[44:45]
	scratch_load_b64 v[44:45], off, off offset:344 th:TH_LOAD_LU ; 8-byte Folded Reload
	v_add_f64_e32 v[30:31], v[38:39], v[30:31]
	v_fma_f64 v[38:39], v[210:211], s[42:43], v[112:113]
	v_add_f64_e32 v[0:1], v[32:33], v[0:1]
	v_fma_f64 v[32:33], v[224:225], s[18:19], v[46:47]
	scratch_load_b64 v[46:47], off, off offset:368 th:TH_LOAD_LU ; 8-byte Folded Reload
	v_add_f64_e32 v[0:1], v[38:39], v[0:1]
	v_add_f64_e32 v[30:31], v[32:33], v[30:31]
	v_fma_f64 v[32:33], v[218:219], s[40:41], v[122:123]
	v_fma_f64 v[38:39], v[237:238], s[34:35], v[120:121]
	s_delay_alu instid0(VALU_DEP_2) | instskip(NEXT) | instid1(VALU_DEP_2)
	v_add_f64_e32 v[0:1], v[32:33], v[0:1]
	v_add_f64_e32 v[30:31], v[38:39], v[30:31]
	v_fma_f64 v[38:39], v[239:240], s[12:13], v[138:139]
	v_fma_f64 v[32:33], v[245:246], s[28:29], v[136:137]
	s_delay_alu instid0(VALU_DEP_1) | instskip(NEXT) | instid1(VALU_DEP_3)
	v_add_f64_e32 v[30:31], v[32:33], v[30:31]
	v_add_f64_e32 v[32:33], v[38:39], v[0:1]
	scratch_load_b64 v[38:39], off, off offset:336 th:TH_LOAD_LU ; 8-byte Folded Reload
	v_mul_f64_e32 v[0:1], s[10:11], v[200:201]
	v_add_f64_e32 v[30:31], v[40:41], v[30:31]
	scratch_load_b64 v[40:41], off, off offset:328 th:TH_LOAD_LU ; 8-byte Folded Reload
	s_wait_loadcnt 0x1
	v_add_f64_e32 v[0:1], v[38:39], v[0:1]
	v_mul_f64_e32 v[38:39], s[10:11], v[196:197]
	s_wait_loadcnt 0x0
	s_delay_alu instid0(VALU_DEP_1) | instskip(SKIP_1) | instid1(VALU_DEP_1)
	v_add_f64_e64 v[38:39], v[38:39], -v[40:41]
	v_mul_f64_e32 v[40:41], s[18:19], v[212:213]
	v_add_f64_e32 v[40:41], v[42:43], v[40:41]
	scratch_load_b64 v[42:43], off, off offset:656 th:TH_LOAD_LU ; 8-byte Folded Reload
	s_wait_loadcnt 0x0
	v_add_f64_e32 v[0:1], v[0:1], v[42:43]
	v_mul_f64_e32 v[42:43], s[18:19], v[204:205]
	s_delay_alu instid0(VALU_DEP_2) | instskip(NEXT) | instid1(VALU_DEP_2)
	v_add_f64_e32 v[0:1], v[40:41], v[0:1]
	v_add_f64_e64 v[42:43], v[42:43], -v[44:45]
	scratch_load_b64 v[44:45], off, off offset:648 th:TH_LOAD_LU ; 8-byte Folded Reload
	v_mul_f64_e32 v[40:41], s[22:23], v[208:209]
	s_wait_loadcnt 0x0
	v_add_f64_e32 v[38:39], v[38:39], v[44:45]
	v_mul_f64_e32 v[44:45], s[22:23], v[216:217]
	s_delay_alu instid0(VALU_DEP_2) | instskip(NEXT) | instid1(VALU_DEP_2)
	v_add_f64_e32 v[38:39], v[42:43], v[38:39]
	v_add_f64_e32 v[44:45], v[46:47], v[44:45]
	scratch_load_b64 v[46:47], off, off offset:352 th:TH_LOAD_LU ; 8-byte Folded Reload
	v_mul_f64_e32 v[42:43], s[24:25], v[230:231]
	v_add_f64_e32 v[0:1], v[44:45], v[0:1]
	v_mul_f64_e32 v[44:45], s[24:25], v[224:225]
	s_wait_loadcnt 0x0
	v_add_f64_e64 v[40:41], v[40:41], -v[46:47]
	scratch_load_b64 v[46:47], off, off offset:384 th:TH_LOAD_LU ; 8-byte Folded Reload
	v_add_f64_e32 v[38:39], v[40:41], v[38:39]
	v_mul_f64_e32 v[40:41], s[28:29], v[241:242]
	s_wait_loadcnt 0x0
	v_add_f64_e32 v[42:43], v[46:47], v[42:43]
	scratch_load_b64 v[46:47], off, off offset:376 th:TH_LOAD_LU ; 8-byte Folded Reload
	v_add_f64_e32 v[0:1], v[42:43], v[0:1]
	v_mul_f64_e32 v[42:43], s[28:29], v[237:238]
	s_wait_loadcnt 0x0
	v_add_f64_e64 v[44:45], v[44:45], -v[46:47]
	scratch_load_b64 v[46:47], off, off offset:400 th:TH_LOAD_LU ; 8-byte Folded Reload
	v_add_f64_e32 v[38:39], v[44:45], v[38:39]
	v_mul_f64_e32 v[44:45], s[34:35], v[249:250]
	s_wait_loadcnt 0x0
	v_add_f64_e32 v[40:41], v[46:47], v[40:41]
	scratch_load_b64 v[46:47], off, off offset:392 th:TH_LOAD_LU ; 8-byte Folded Reload
	;; [unrolled: 10-line block ×3, first 2 shown]
	v_add_f64_e32 v[0:1], v[44:45], v[0:1]
	v_mul_f64_e32 v[44:45], s[36:37], v[253:254]
	s_wait_loadcnt 0x0
	v_add_f64_e64 v[40:41], v[40:41], -v[46:47]
	scratch_load_b64 v[46:47], off, off offset:432 th:TH_LOAD_LU ; 8-byte Folded Reload
	v_add_f64_e32 v[38:39], v[40:41], v[38:39]
	scratch_load_b64 v[40:41], off, off offset:512 th:TH_LOAD_LU ; 8-byte Folded Reload
	s_wait_loadcnt 0x1
	v_add_f64_e32 v[42:43], v[46:47], v[42:43]
	scratch_load_b64 v[46:47], off, off offset:424 th:TH_LOAD_LU ; 8-byte Folded Reload
	v_add_f64_e32 v[138:139], v[42:43], v[0:1]
	scratch_load_b64 v[0:1], off, off offset:624 th:TH_LOAD_LU ; 8-byte Folded Reload
	s_wait_loadcnt 0x1
	v_add_f64_e64 v[44:45], v[44:45], -v[46:47]
	s_delay_alu instid0(VALU_DEP_1) | instskip(SKIP_3) | instid1(VALU_DEP_1)
	v_add_f64_e32 v[136:137], v[44:45], v[38:39]
	scratch_load_b64 v[38:39], off, off offset:640 th:TH_LOAD_LU ; 8-byte Folded Reload
	s_wait_loadcnt 0x1
	v_add_f64_e32 v[0:1], v[0:1], v[104:105]
	v_add_f64_e32 v[0:1], v[0:1], v[100:101]
	s_wait_loadcnt 0x0
	v_add_f64_e32 v[38:39], v[38:39], v[102:103]
	s_delay_alu instid0(VALU_DEP_1)
	v_add_f64_e32 v[38:39], v[38:39], v[40:41]
	scratch_load_b64 v[40:41], off, off offset:592 th:TH_LOAD_LU ; 8-byte Folded Reload
	s_wait_loadcnt 0x0
	v_add_f64_e32 v[0:1], v[0:1], v[40:41]
	scratch_load_b64 v[40:41], off, off offset:608 th:TH_LOAD_LU ; 8-byte Folded Reload
	s_wait_loadcnt 0x0
	v_add_f64_e32 v[38:39], v[38:39], v[40:41]
	scratch_load_b64 v[40:41], off, off offset:600 th:TH_LOAD_LU ; 8-byte Folded Reload
	v_add_f64_e32 v[38:39], v[38:39], v[106:107]
	s_wait_loadcnt 0x0
	v_add_f64_e32 v[0:1], v[0:1], v[40:41]
	scratch_load_b64 v[40:41], off, off offset:312 th:TH_LOAD_LU ; 8-byte Folded Reload
	s_wait_loadcnt 0x0
	v_add_f64_e32 v[0:1], v[0:1], v[40:41]
	scratch_load_b64 v[40:41], off, off offset:320 th:TH_LOAD_LU ; 8-byte Folded Reload
	;; [unrolled: 3-line block ×4, first 2 shown]
	v_add_f64_e32 v[0:1], v[0:1], v[98:99]
	s_delay_alu instid0(VALU_DEP_1) | instskip(NEXT) | instid1(VALU_DEP_1)
	v_add_f64_e32 v[0:1], v[0:1], v[192:193]
	v_add_f64_e32 v[0:1], v[0:1], v[114:115]
	s_wait_loadcnt 0x0
	v_add_f64_e32 v[38:39], v[38:39], v[40:41]
	scratch_load_b64 v[40:41], off, off offset:304 th:TH_LOAD_LU ; 8-byte Folded Reload
	v_add_f64_e32 v[38:39], v[38:39], v[190:191]
	s_delay_alu instid0(VALU_DEP_1) | instskip(NEXT) | instid1(VALU_DEP_1)
	v_add_f64_e32 v[38:39], v[38:39], v[194:195]
	v_add_f64_e32 v[38:39], v[38:39], v[96:97]
	s_wait_loadcnt 0x0
	v_add_f64_e32 v[0:1], v[0:1], v[40:41]
	scratch_load_b64 v[40:41], off, off offset:544 th:TH_LOAD_LU ; 8-byte Folded Reload
	s_wait_loadcnt 0x0
	v_add_f64_e32 v[38:39], v[38:39], v[40:41]
	scratch_load_b64 v[40:41], off, off offset:568 th:TH_LOAD_LU ; 8-byte Folded Reload
	;; [unrolled: 3-line block ×11, first 2 shown]
	s_wait_loadcnt 0x0
	v_add_f64_e32 v[96:97], v[38:39], v[0:1]
	s_clause 0x1
	scratch_load_b32 v0, off, off offset:208
	scratch_load_b32 v1, off, off offset:212
	s_wait_loadcnt 0x1
	v_and_b32_e32 v0, 0xffff, v0
	s_delay_alu instid0(VALU_DEP_1) | instskip(SKIP_1) | instid1(VALU_DEP_1)
	v_mul_u32_u24_e32 v0, 51, v0
	s_wait_loadcnt 0x0
	v_add_lshl_u32 v0, v0, v1, 4
	ds_store_b128 v0, v[2:5] offset:96
	ds_store_b128 v0, v[172:175] offset:672
	;; [unrolled: 1-line block ×15, first 2 shown]
	ds_store_b128 v0, v[96:99]
	ds_store_b128 v0, v[48:51] offset:768
.LBB0_11:
	s_wait_alu 0xfffe
	s_or_b32 exec_lo, exec_lo, s1
	v_mad_co_u64_u32 v[0:1], null, 0x60, v236, s[2:3]
	global_wb scope:SCOPE_SE
	s_wait_storecnt_dscnt 0x0
	s_barrier_signal -1
	s_barrier_wait -1
	global_inv scope:SCOPE_SE
	s_mov_b32 s20, 0xe976ee23
	s_mov_b32 s21, 0xbfe11646
	s_clause 0x4
	global_load_b128 v[88:91], v[0:1], off offset:768
	global_load_b128 v[104:107], v[0:1], off offset:784
	;; [unrolled: 1-line block ×5, first 2 shown]
	ds_load_b128 v[2:5], v255 offset:1632
	ds_load_b128 v[6:9], v255 offset:3264
	;; [unrolled: 1-line block ×6, first 2 shown]
	global_load_b128 v[120:123], v[0:1], off offset:816
	ds_load_b128 v[22:25], v255 offset:10608
	s_mov_b32 s10, 0x429ad128
	s_mov_b32 s14, 0xaaaaaaaa
	;; [unrolled: 1-line block ×16, first 2 shown]
	s_wait_alu 0xfffe
	s_mov_b32 s28, s22
	s_mov_b32 s26, s18
	s_wait_loadcnt_dscnt 0x506
	v_mul_f64_e32 v[30:31], v[4:5], v[90:91]
	s_wait_loadcnt_dscnt 0x405
	v_mul_f64_e32 v[34:35], v[8:9], v[106:107]
	v_mul_f64_e32 v[36:37], v[6:7], v[106:107]
	;; [unrolled: 1-line block ×3, first 2 shown]
	s_wait_loadcnt_dscnt 0x304
	v_mul_f64_e32 v[38:39], v[12:13], v[94:95]
	v_mul_f64_e32 v[40:41], v[10:11], v[94:95]
	v_fma_f64 v[30:31], v[2:3], v[88:89], -v[30:31]
	v_fma_f64 v[34:35], v[6:7], v[104:105], -v[34:35]
	s_wait_loadcnt_dscnt 0x201
	v_mul_f64_e32 v[6:7], v[28:29], v[98:99]
	v_fma_f64 v[36:37], v[8:9], v[104:105], v[36:37]
	v_mul_f64_e32 v[8:9], v[26:27], v[98:99]
	v_fma_f64 v[32:33], v[4:5], v[88:89], v[32:33]
	ds_load_b128 v[2:5], v255 offset:8976
	v_fma_f64 v[38:39], v[10:11], v[92:93], -v[38:39]
	v_mul_f64_e32 v[10:11], v[16:17], v[90:91]
	v_fma_f64 v[40:41], v[12:13], v[92:93], v[40:41]
	v_fma_f64 v[26:27], v[26:27], v[96:97], -v[6:7]
	v_mul_f64_e32 v[6:7], v[14:15], v[90:91]
	v_fma_f64 v[28:29], v[28:29], v[96:97], v[8:9]
	v_mul_f64_e32 v[8:9], v[20:21], v[106:107]
	v_fma_f64 v[42:43], v[14:15], v[88:89], -v[10:11]
	s_wait_dscnt 0x1
	v_mul_f64_e32 v[10:11], v[24:25], v[94:95]
	v_add_f64_e32 v[154:155], v[32:33], v[40:41]
	v_fma_f64 v[44:45], v[16:17], v[88:89], v[6:7]
	v_mul_f64_e32 v[6:7], v[18:19], v[106:107]
	v_fma_f64 v[46:47], v[18:19], v[104:105], -v[8:9]
	s_wait_dscnt 0x0
	v_mul_f64_e32 v[8:9], v[4:5], v[98:99]
	v_add_f64_e32 v[156:157], v[36:37], v[28:29]
	v_fma_f64 v[138:139], v[22:23], v[92:93], -v[10:11]
	v_fma_f64 v[136:137], v[20:21], v[104:105], v[6:7]
	v_mul_f64_e32 v[6:7], v[22:23], v[94:95]
	v_fma_f64 v[142:143], v[2:3], v[96:97], -v[8:9]
	v_add_f64_e32 v[22:23], v[30:31], v[38:39]
	v_add_f64_e64 v[30:31], v[30:31], -v[38:39]
	v_add_f64_e32 v[162:163], v[42:43], v[138:139]
	v_fma_f64 v[140:141], v[24:25], v[92:93], v[6:7]
	v_mul_f64_e32 v[6:7], v[2:3], v[98:99]
	v_add_f64_e32 v[176:177], v[46:47], v[142:143]
	s_delay_alu instid0(VALU_DEP_3) | instskip(NEXT) | instid1(VALU_DEP_3)
	v_add_f64_e32 v[182:183], v[44:45], v[140:141]
	v_fma_f64 v[144:145], v[4:5], v[96:97], v[6:7]
	ds_load_b128 v[2:5], v255 offset:4896
	ds_load_b128 v[6:9], v255 offset:5712
	v_add_f64_e32 v[180:181], v[176:177], v[162:163]
	v_add_f64_e64 v[44:45], v[44:45], -v[140:141]
	s_wait_loadcnt_dscnt 0x101
	v_mul_f64_e32 v[10:11], v[4:5], v[114:115]
	v_add_f64_e32 v[184:185], v[136:137], v[144:145]
	s_delay_alu instid0(VALU_DEP_2) | instskip(SKIP_1) | instid1(VALU_DEP_3)
	v_fma_f64 v[14:15], v[2:3], v[112:113], -v[10:11]
	v_mul_f64_e32 v[2:3], v[2:3], v[114:115]
	v_add_f64_e32 v[188:189], v[184:185], v[182:183]
	s_delay_alu instid0(VALU_DEP_2) | instskip(SKIP_4) | instid1(VALU_DEP_1)
	v_fma_f64 v[16:17], v[4:5], v[112:113], v[2:3]
	ds_load_b128 v[2:5], v255 offset:6528
	ds_load_b128 v[10:13], v255 offset:7344
	s_wait_loadcnt_dscnt 0x1
	v_mul_f64_e32 v[18:19], v[4:5], v[122:123]
	v_fma_f64 v[18:19], v[2:3], v[120:121], -v[18:19]
	v_mul_f64_e32 v[2:3], v[2:3], v[122:123]
	s_delay_alu instid0(VALU_DEP_2) | instskip(NEXT) | instid1(VALU_DEP_2)
	v_add_f64_e32 v[24:25], v[14:15], v[18:19]
	v_fma_f64 v[20:21], v[4:5], v[120:121], v[2:3]
	v_mul_f64_e32 v[2:3], v[8:9], v[114:115]
	v_add_f64_e64 v[18:19], v[18:19], -v[14:15]
	v_add_f64_e64 v[14:15], v[36:37], -v[28:29]
	;; [unrolled: 1-line block ×3, first 2 shown]
	v_add_f64_e32 v[158:159], v[16:17], v[20:21]
	v_fma_f64 v[146:147], v[6:7], v[112:113], -v[2:3]
	v_mul_f64_e32 v[2:3], v[6:7], v[114:115]
	v_add_f64_e64 v[20:21], v[20:21], -v[16:17]
	v_add_f64_e64 v[36:37], v[14:15], -v[28:29]
	;; [unrolled: 1-line block ×3, first 2 shown]
	s_delay_alu instid0(VALU_DEP_4) | instskip(SKIP_2) | instid1(VALU_DEP_1)
	v_fma_f64 v[148:149], v[8:9], v[112:113], v[2:3]
	s_wait_dscnt 0x0
	v_mul_f64_e32 v[2:3], v[12:13], v[122:123]
	v_fma_f64 v[150:151], v[10:11], v[120:121], -v[2:3]
	v_mul_f64_e32 v[2:3], v[10:11], v[122:123]
	v_add_f64_e32 v[10:11], v[34:35], v[26:27]
	v_add_f64_e64 v[26:27], v[34:35], -v[26:27]
	v_add_f64_e64 v[34:35], v[20:21], -v[14:15]
	v_add_f64_e32 v[14:15], v[20:21], v[14:15]
	v_add_f64_e32 v[178:179], v[146:147], v[150:151]
	v_fma_f64 v[152:153], v[12:13], v[120:121], v[2:3]
	v_add_f64_e32 v[2:3], v[10:11], v[22:23]
	v_add_f64_e64 v[16:17], v[18:19], -v[26:27]
	v_add_f64_e64 v[32:33], v[26:27], -v[30:31]
	v_add_f64_e32 v[26:27], v[18:19], v[26:27]
	v_add_f64_e64 v[38:39], v[24:25], -v[10:11]
	v_add_f64_e64 v[40:41], v[10:11], -v[22:23]
	v_mul_f64_e32 v[34:35], s[20:21], v[34:35]
	v_add_f64_e64 v[22:23], v[22:23], -v[24:25]
	v_add_f64_e32 v[194:195], v[14:15], v[28:29]
	v_add_f64_e64 v[28:29], v[28:29], -v[20:21]
	v_mul_f64_e32 v[20:21], s[10:11], v[36:37]
	v_mul_f64_e32 v[14:15], s[2:3], v[190:191]
	v_add_f64_e32 v[180:181], v[178:179], v[180:181]
	v_add_f64_e32 v[186:187], v[148:149], v[152:153]
	v_add_f64_e32 v[12:13], v[24:25], v[2:3]
	v_add_f64_e32 v[2:3], v[156:157], v[154:155]
	v_mul_f64_e32 v[192:193], s[20:21], v[16:17]
	v_add_f64_e32 v[26:27], v[26:27], v[30:31]
	v_add_f64_e64 v[24:25], v[154:155], -v[158:159]
	v_add_f64_e64 v[30:31], v[30:31], -v[18:19]
	v_mul_f64_e32 v[18:19], s[10:11], v[32:33]
	v_add_f64_e64 v[156:157], v[156:157], -v[154:155]
	v_mul_f64_e32 v[10:11], s[2:3], v[38:39]
	s_wait_alu 0xfffe
	v_fma_f64 v[20:21], v[28:29], s[28:29], -v[20:21]
	v_fma_f64 v[28:29], v[28:29], s[22:23], v[34:35]
	v_add_f64_e32 v[188:189], v[186:187], v[188:189]
	v_add_f64_e32 v[160:161], v[158:159], v[2:3]
	ds_load_b128 v[2:5], v255
	ds_load_b128 v[6:9], v255 offset:816
	global_wb scope:SCOPE_SE
	s_wait_dscnt 0x0
	s_barrier_signal -1
	s_barrier_wait -1
	v_fma_f64 v[18:19], v[30:31], s[28:29], -v[18:19]
	v_fma_f64 v[30:31], v[30:31], s[22:23], v[192:193]
	v_fma_f64 v[10:11], v[40:41], s[18:19], -v[10:11]
	v_fma_f64 v[14:15], v[156:157], s[18:19], -v[14:15]
	v_fma_f64 v[154:155], v[194:195], s[12:13], v[20:21]
	global_inv scope:SCOPE_SE
	v_add_f64_e32 v[2:3], v[2:3], v[12:13]
	v_add_f64_e32 v[6:7], v[6:7], v[180:181]
	;; [unrolled: 1-line block ×4, first 2 shown]
	s_delay_alu instid0(VALU_DEP_4)
	v_fma_f64 v[196:197], v[12:13], s[14:15], v[2:3]
	v_fma_f64 v[12:13], v[32:33], s[10:11], -v[192:193]
	v_mul_f64_e32 v[32:33], s[24:25], v[22:23]
	v_fma_f64 v[158:159], v[180:181], s[14:15], v[6:7]
	v_fma_f64 v[160:161], v[160:161], s[14:15], v[4:5]
	v_add_f64_e32 v[200:201], v[10:11], v[196:197]
	v_fma_f64 v[16:17], v[26:27], s[12:13], v[12:13]
	v_fma_f64 v[12:13], v[36:37], s[10:11], -v[34:35]
	v_mul_f64_e32 v[36:37], s[24:25], v[24:25]
	v_fma_f64 v[22:23], v[40:41], s[26:27], -v[32:33]
	v_fma_f64 v[32:33], v[38:39], s[2:3], v[32:33]
	v_fma_f64 v[40:41], v[26:27], s[12:13], v[18:19]
	v_add_f64_e64 v[38:39], v[150:151], -v[146:147]
	v_add_f64_e64 v[150:151], v[186:187], -v[184:185]
	;; [unrolled: 1-line block ×3, first 2 shown]
	v_add_f64_e32 v[202:203], v[14:15], v[160:161]
	v_fma_f64 v[198:199], v[194:195], s[12:13], v[12:13]
	v_fma_f64 v[34:35], v[190:191], s[2:3], v[36:37]
	v_fma_f64 v[24:25], v[156:157], s[26:27], -v[36:37]
	v_fma_f64 v[36:37], v[26:27], s[12:13], v[30:31]
	v_fma_f64 v[30:31], v[194:195], s[12:13], v[28:29]
	v_add_f64_e32 v[32:33], v[32:33], v[196:197]
	v_add_f64_e32 v[22:23], v[22:23], v[196:197]
	;; [unrolled: 1-line block ×3, first 2 shown]
	v_add_f64_e64 v[16:17], v[202:203], -v[16:17]
	v_add_f64_e64 v[10:11], v[200:201], -v[198:199]
	v_add_f64_e32 v[34:35], v[34:35], v[160:161]
	v_add_f64_e32 v[24:25], v[24:25], v[160:161]
	v_fma_f64 v[160:161], v[188:189], s[14:15], v[8:9]
	v_add_f64_e32 v[14:15], v[198:199], v[200:201]
	v_add_f64_e32 v[26:27], v[30:31], v[32:33]
	v_add_f64_e64 v[30:31], v[32:33], -v[30:31]
	v_add_f64_e32 v[18:19], v[154:155], v[22:23]
	v_add_f64_e64 v[22:23], v[22:23], -v[154:155]
	v_add_f64_e64 v[28:29], v[34:35], -v[36:37]
	v_add_f64_e32 v[32:33], v[36:37], v[34:35]
	v_add_f64_e64 v[34:35], v[46:47], -v[142:143]
	;; [unrolled: 3-line block ×3, first 2 shown]
	v_add_f64_e64 v[36:37], v[136:137], -v[144:145]
	v_add_f64_e64 v[42:43], v[152:153], -v[148:149]
	;; [unrolled: 1-line block ×5, first 2 shown]
	ds_store_b128 v255, v[2:5]
	ds_store_b128 v255, v[26:29] offset:816
	ds_store_b128 v255, v[18:21] offset:1632
	;; [unrolled: 1-line block ×4, first 2 shown]
	v_add_f64_e64 v[46:47], v[38:39], -v[34:35]
	v_mul_i32_i24_e32 v2, 0xffffffb0, v236
	v_mul_hi_i32_i24_e32 v3, 0xffffffb0, v236
	v_add_f64_e64 v[140:141], v[34:35], -v[40:41]
	v_add_f64_e32 v[34:35], v[38:39], v[34:35]
	v_add_f64_e64 v[136:137], v[42:43], -v[36:37]
	v_add_f64_e64 v[142:143], v[36:37], -v[44:45]
	v_add_f64_e32 v[36:37], v[42:43], v[36:37]
	v_add_f64_e64 v[38:39], v[40:41], -v[38:39]
	v_mul_f64_e32 v[162:163], s[24:25], v[162:163]
	v_add_co_u32 v16, s1, v0, v2
	s_wait_alu 0xf1ff
	v_add_co_ci_u32_e64 v17, s1, v1, v3, s1
	v_mul_f64_e32 v[46:47], s[20:21], v[46:47]
	v_add_f64_e32 v[154:155], v[34:35], v[40:41]
	v_mul_f64_e32 v[152:153], s[20:21], v[136:137]
	v_mul_f64_e32 v[34:35], s[2:3], v[148:149]
	v_add_f64_e32 v[156:157], v[36:37], v[44:45]
	v_add_f64_e64 v[40:41], v[44:45], -v[42:43]
	v_mul_f64_e32 v[42:43], s[10:11], v[140:141]
	v_mul_f64_e32 v[44:45], s[10:11], v[142:143]
	;; [unrolled: 1-line block ×3, first 2 shown]
	v_fma_f64 v[136:137], v[140:141], s[10:11], -v[46:47]
	v_fma_f64 v[140:141], v[144:145], s[26:27], -v[162:163]
	;; [unrolled: 1-line block ×6, first 2 shown]
	v_fma_f64 v[38:39], v[38:39], s[22:23], v[46:47]
	v_fma_f64 v[40:41], v[40:41], s[22:23], v[152:153]
	;; [unrolled: 1-line block ×3, first 2 shown]
	v_fma_f64 v[136:137], v[142:143], s[10:11], -v[152:153]
	v_add_f64_e32 v[144:145], v[140:141], v[158:159]
	v_add_f64_e32 v[176:177], v[34:35], v[158:159]
	v_fma_f64 v[42:43], v[154:155], s[12:13], v[42:43]
	v_fma_f64 v[44:45], v[156:157], s[12:13], v[44:45]
	v_add_f64_e32 v[180:181], v[36:37], v[160:161]
	v_fma_f64 v[38:39], v[154:155], s[12:13], v[38:39]
	v_fma_f64 v[40:41], v[156:157], s[12:13], v[40:41]
	;; [unrolled: 1-line block ×3, first 2 shown]
	v_add_f64_e32 v[140:141], v[44:45], v[144:145]
	v_add_f64_e64 v[144:145], v[144:145], -v[44:45]
	v_add_f64_e32 v[36:37], v[138:139], v[180:181]
	v_add_f64_e64 v[138:139], v[180:181], -v[138:139]
	v_add_f64_e64 v[34:35], v[176:177], -v[136:137]
	v_add_f64_e32 v[136:137], v[136:137], v[176:177]
	v_add_f64_e64 v[176:177], v[182:183], -v[186:187]
	s_delay_alu instid0(VALU_DEP_1) | instskip(NEXT) | instid1(VALU_DEP_1)
	v_mul_f64_e32 v[176:177], s[24:25], v[176:177]
	v_fma_f64 v[142:143], v[146:147], s[26:27], -v[176:177]
	v_fma_f64 v[44:45], v[150:151], s[2:3], v[176:177]
	s_delay_alu instid0(VALU_DEP_2) | instskip(NEXT) | instid1(VALU_DEP_2)
	v_add_f64_e32 v[146:147], v[142:143], v[160:161]
	v_add_f64_e32 v[44:45], v[44:45], v[160:161]
	s_delay_alu instid0(VALU_DEP_2) | instskip(SKIP_2) | instid1(VALU_DEP_4)
	v_add_f64_e64 v[142:143], v[146:147], -v[42:43]
	v_add_f64_e32 v[146:147], v[42:43], v[146:147]
	v_fma_f64 v[42:43], v[148:149], s[2:3], v[162:163]
	v_add_f64_e64 v[150:151], v[44:45], -v[38:39]
	v_add_f64_e32 v[154:155], v[38:39], v[44:45]
	s_add_nc_u64 s[2:3], s[16:17], 0x2ca0
	s_delay_alu instid0(VALU_DEP_3) | instskip(NEXT) | instid1(VALU_DEP_1)
	v_add_f64_e32 v[42:43], v[42:43], v[158:159]
	v_add_f64_e32 v[148:149], v[40:41], v[42:43]
	v_add_f64_e64 v[152:153], v[42:43], -v[40:41]
	ds_store_b128 v255, v[22:25] offset:4080
	ds_store_b128 v255, v[6:9] offset:5712
	;; [unrolled: 1-line block ×9, first 2 shown]
	global_wb scope:SCOPE_SE
	s_wait_dscnt 0x0
	s_barrier_signal -1
	s_barrier_wait -1
	global_inv scope:SCOPE_SE
	s_clause 0x3
	global_load_b128 v[100:103], v[16:17], off offset:5664
	global_load_b128 v[136:139], v[16:17], off offset:6480
	;; [unrolled: 1-line block ×4, first 2 shown]
	ds_load_b128 v[0:3], v255 offset:5712
	ds_load_b128 v[4:7], v255 offset:4896
	;; [unrolled: 1-line block ×4, first 2 shown]
	s_wait_loadcnt_dscnt 0x303
	v_mul_f64_e32 v[18:19], v[2:3], v[102:103]
	v_mul_f64_e32 v[20:21], v[0:1], v[102:103]
	s_wait_loadcnt_dscnt 0x201
	v_mul_f64_e32 v[22:23], v[10:11], v[138:139]
	s_delay_alu instid0(VALU_DEP_3) | instskip(SKIP_1) | instid1(VALU_DEP_4)
	v_fma_f64 v[18:19], v[0:1], v[100:101], -v[18:19]
	v_mul_f64_e32 v[0:1], v[8:9], v[138:139]
	v_fma_f64 v[20:21], v[2:3], v[100:101], v[20:21]
	s_wait_loadcnt_dscnt 0x100
	v_mul_f64_e32 v[2:3], v[14:15], v[142:143]
	v_fma_f64 v[22:23], v[8:9], v[136:137], -v[22:23]
	s_delay_alu instid0(VALU_DEP_4) | instskip(SKIP_1) | instid1(VALU_DEP_4)
	v_fma_f64 v[24:25], v[10:11], v[136:137], v[0:1]
	v_mul_f64_e32 v[0:1], v[12:13], v[142:143]
	v_fma_f64 v[28:29], v[12:13], v[140:141], -v[2:3]
	s_delay_alu instid0(VALU_DEP_2)
	v_fma_f64 v[30:31], v[14:15], v[140:141], v[0:1]
	ds_load_b128 v[0:3], v255 offset:8160
	ds_load_b128 v[8:11], v255 offset:8976
	s_clause 0x1
	global_load_b128 v[152:155], v[16:17], off offset:8928
	global_load_b128 v[148:151], v[16:17], off offset:9744
	s_wait_loadcnt_dscnt 0x201
	v_mul_f64_e32 v[12:13], v[2:3], v[146:147]
	s_delay_alu instid0(VALU_DEP_1) | instskip(SKIP_1) | instid1(VALU_DEP_1)
	v_fma_f64 v[32:33], v[0:1], v[144:145], -v[12:13]
	v_mul_f64_e32 v[0:1], v[0:1], v[146:147]
	v_fma_f64 v[34:35], v[2:3], v[144:145], v[0:1]
	s_wait_loadcnt_dscnt 0x100
	v_mul_f64_e32 v[0:1], v[10:11], v[154:155]
	s_delay_alu instid0(VALU_DEP_1) | instskip(SKIP_1) | instid1(VALU_DEP_1)
	v_fma_f64 v[40:41], v[8:9], v[152:153], -v[0:1]
	v_mul_f64_e32 v[0:1], v[8:9], v[154:155]
	v_fma_f64 v[42:43], v[10:11], v[152:153], v[0:1]
	ds_load_b128 v[0:3], v255 offset:9792
	ds_load_b128 v[8:11], v255 offset:10608
	global_load_b128 v[156:159], v[16:17], off offset:10560
	s_wait_loadcnt_dscnt 0x101
	v_mul_f64_e32 v[12:13], v[2:3], v[150:151]
	s_delay_alu instid0(VALU_DEP_1) | instskip(SKIP_1) | instid1(VALU_DEP_1)
	v_fma_f64 v[44:45], v[0:1], v[148:149], -v[12:13]
	v_mul_f64_e32 v[0:1], v[0:1], v[150:151]
	v_fma_f64 v[46:47], v[2:3], v[148:149], v[0:1]
	s_wait_loadcnt_dscnt 0x0
	v_mul_f64_e32 v[0:1], v[10:11], v[158:159]
	s_delay_alu instid0(VALU_DEP_1) | instskip(SKIP_1) | instid1(VALU_DEP_2)
	v_fma_f64 v[180:181], v[8:9], v[156:157], -v[0:1]
	v_mul_f64_e32 v[0:1], v[8:9], v[158:159]
	v_add_f64_e64 v[184:185], v[4:5], -v[180:181]
	s_delay_alu instid0(VALU_DEP_2)
	v_fma_f64 v[182:183], v[10:11], v[156:157], v[0:1]
	ds_load_b128 v[0:3], v255
	ds_load_b128 v[8:11], v255 offset:816
	s_wait_dscnt 0x1
	v_add_f64_e64 v[12:13], v[0:1], -v[18:19]
	v_add_f64_e64 v[14:15], v[2:3], -v[20:21]
	s_wait_dscnt 0x0
	v_add_f64_e64 v[16:17], v[8:9], -v[22:23]
	v_add_f64_e64 v[18:19], v[10:11], -v[24:25]
	ds_load_b128 v[20:23], v255 offset:1632
	ds_load_b128 v[24:27], v255 offset:2448
	;; [unrolled: 1-line block ×4, first 2 shown]
	v_fma_f64 v[180:181], v[4:5], 2.0, -v[184:185]
	v_add_f64_e64 v[186:187], v[6:7], -v[182:183]
	s_wait_dscnt 0x3
	v_add_f64_e64 v[28:29], v[20:21], -v[28:29]
	v_add_f64_e64 v[30:31], v[22:23], -v[30:31]
	s_wait_dscnt 0x2
	v_add_f64_e64 v[32:33], v[24:25], -v[32:33]
	;; [unrolled: 3-line block ×4, first 2 shown]
	v_add_f64_e64 v[194:195], v[178:179], -v[46:47]
	v_fma_f64 v[0:1], v[0:1], 2.0, -v[12:13]
	v_fma_f64 v[2:3], v[2:3], 2.0, -v[14:15]
	;; [unrolled: 1-line block ×13, first 2 shown]
	ds_store_b128 v255, v[16:19] offset:6528
	ds_store_b128 v255, v[28:31] offset:7344
	;; [unrolled: 1-line block ×4, first 2 shown]
	ds_store_b128 v255, v[0:3]
	ds_store_b128 v255, v[8:11] offset:816
	ds_store_b128 v255, v[20:23] offset:1632
	;; [unrolled: 1-line block ×9, first 2 shown]
	global_wb scope:SCOPE_SE
	s_wait_dscnt 0x0
	s_barrier_signal -1
	s_barrier_wait -1
	global_inv scope:SCOPE_SE
	scratch_load_b64 v[0:1], off, off       ; 8-byte Folded Reload
	s_wait_loadcnt 0x0
	global_load_b128 v[0:3], v[0:1], off offset:11424
	ds_load_b128 v[4:7], v255
	ds_load_b128 v[8:11], v255 offset:816
	s_wait_loadcnt_dscnt 0x1
	v_mul_f64_e32 v[12:13], v[6:7], v[2:3]
	v_mul_f64_e32 v[14:15], v[4:5], v[2:3]
	s_delay_alu instid0(VALU_DEP_2) | instskip(NEXT) | instid1(VALU_DEP_2)
	v_fma_f64 v[2:3], v[4:5], v[0:1], -v[12:13]
	v_fma_f64 v[4:5], v[6:7], v[0:1], v[14:15]
	global_load_b128 v[12:15], v255, s[2:3] offset:3808
	ds_load_b128 v[16:19], v255 offset:3808
	ds_load_b128 v[20:23], v255 offset:4624
	s_clause 0x1
	global_load_b128 v[24:27], v255, s[2:3] offset:2448
	global_load_b128 v[28:31], v255, s[2:3] offset:7616
	ds_load_b128 v[32:35], v255 offset:7616
	ds_load_b128 v[36:39], v255 offset:8432
	s_clause 0x2
	global_load_b128 v[176:179], v255, s[2:3] offset:6256
	global_load_b128 v[188:191], v255, s[2:3] offset:816
	;; [unrolled: 1-line block ×3, first 2 shown]
	s_wait_loadcnt_dscnt 0x503
	v_mul_f64_e32 v[0:1], v[18:19], v[14:15]
	v_mul_f64_e32 v[6:7], v[16:17], v[14:15]
	s_delay_alu instid0(VALU_DEP_2) | instskip(SKIP_2) | instid1(VALU_DEP_3)
	v_fma_f64 v[14:15], v[16:17], v[12:13], -v[0:1]
	s_wait_loadcnt_dscnt 0x301
	v_mul_f64_e32 v[0:1], v[34:35], v[30:31]
	v_fma_f64 v[16:17], v[18:19], v[12:13], v[6:7]
	v_mul_f64_e32 v[6:7], v[32:33], v[30:31]
	s_wait_loadcnt 0x1
	v_mul_f64_e32 v[12:13], v[8:9], v[190:191]
	s_delay_alu instid0(VALU_DEP_4) | instskip(SKIP_1) | instid1(VALU_DEP_4)
	v_fma_f64 v[30:31], v[32:33], v[28:29], -v[0:1]
	v_mul_f64_e32 v[0:1], v[10:11], v[190:191]
	v_fma_f64 v[32:33], v[34:35], v[28:29], v[6:7]
	s_delay_alu instid0(VALU_DEP_2)
	v_fma_f64 v[6:7], v[8:9], v[188:189], -v[0:1]
	v_fma_f64 v[8:9], v[10:11], v[188:189], v[12:13]
	s_clause 0x1
	global_load_b128 v[10:13], v255, s[2:3] offset:4624
	global_load_b128 v[188:191], v255, s[2:3] offset:5440
	s_wait_loadcnt 0x1
	v_mul_f64_e32 v[0:1], v[22:23], v[12:13]
	v_mul_f64_e32 v[12:13], v[20:21], v[12:13]
	s_delay_alu instid0(VALU_DEP_2) | instskip(NEXT) | instid1(VALU_DEP_2)
	v_fma_f64 v[18:19], v[20:21], v[10:11], -v[0:1]
	v_fma_f64 v[20:21], v[22:23], v[10:11], v[12:13]
	s_clause 0x1
	global_load_b128 v[10:13], v255, s[2:3] offset:8432
	global_load_b128 v[196:199], v255, s[2:3] offset:9248
	s_wait_loadcnt_dscnt 0x100
	v_mul_f64_e32 v[0:1], v[38:39], v[12:13]
	v_mul_f64_e32 v[12:13], v[36:37], v[12:13]
	s_delay_alu instid0(VALU_DEP_2) | instskip(NEXT) | instid1(VALU_DEP_2)
	v_fma_f64 v[34:35], v[36:37], v[10:11], -v[0:1]
	v_fma_f64 v[36:37], v[38:39], v[10:11], v[12:13]
	ds_load_b128 v[10:13], v255 offset:1632
	ds_load_b128 v[200:203], v255 offset:2448
	s_wait_dscnt 0x1
	v_mul_f64_e32 v[0:1], v[12:13], v[194:195]
	v_mul_f64_e32 v[22:23], v[10:11], v[194:195]
	s_delay_alu instid0(VALU_DEP_2) | instskip(NEXT) | instid1(VALU_DEP_2)
	v_fma_f64 v[10:11], v[10:11], v[192:193], -v[0:1]
	v_fma_f64 v[12:13], v[12:13], v[192:193], v[22:23]
	ds_load_b128 v[192:195], v255 offset:5440
	ds_load_b128 v[204:207], v255 offset:6256
	;; [unrolled: 1-line block ×4, first 2 shown]
	s_wait_dscnt 0x3
	v_mul_f64_e32 v[0:1], v[194:195], v[190:191]
	v_mul_f64_e32 v[22:23], v[192:193], v[190:191]
	s_wait_dscnt 0x2
	v_mul_f64_e32 v[28:29], v[204:205], v[178:179]
	s_delay_alu instid0(VALU_DEP_3) | instskip(SKIP_2) | instid1(VALU_DEP_4)
	v_fma_f64 v[190:191], v[192:193], v[188:189], -v[0:1]
	s_wait_loadcnt_dscnt 0x1
	v_mul_f64_e32 v[0:1], v[210:211], v[198:199]
	v_fma_f64 v[192:193], v[194:195], v[188:189], v[22:23]
	v_mul_f64_e32 v[22:23], v[208:209], v[198:199]
	v_fma_f64 v[28:29], v[206:207], v[176:177], v[28:29]
	s_delay_alu instid0(VALU_DEP_4) | instskip(SKIP_1) | instid1(VALU_DEP_4)
	v_fma_f64 v[194:195], v[208:209], v[196:197], -v[0:1]
	v_mul_f64_e32 v[0:1], v[202:203], v[26:27]
	v_fma_f64 v[196:197], v[210:211], v[196:197], v[22:23]
	v_mul_f64_e32 v[26:27], v[200:201], v[26:27]
	s_delay_alu instid0(VALU_DEP_3) | instskip(SKIP_1) | instid1(VALU_DEP_3)
	v_fma_f64 v[22:23], v[200:201], v[24:25], -v[0:1]
	v_mul_f64_e32 v[0:1], v[206:207], v[178:179]
	v_fma_f64 v[24:25], v[202:203], v[24:25], v[26:27]
	s_delay_alu instid0(VALU_DEP_2) | instskip(SKIP_4) | instid1(VALU_DEP_2)
	v_fma_f64 v[26:27], v[204:205], v[176:177], -v[0:1]
	global_load_b128 v[176:179], v255, s[2:3] offset:10064
	s_wait_loadcnt_dscnt 0x0
	v_mul_f64_e32 v[0:1], v[214:215], v[178:179]
	v_mul_f64_e32 v[38:39], v[212:213], v[178:179]
	v_fma_f64 v[198:199], v[212:213], v[176:177], -v[0:1]
	s_delay_alu instid0(VALU_DEP_2)
	v_fma_f64 v[200:201], v[214:215], v[176:177], v[38:39]
	ds_store_b128 v255, v[2:5]
	ds_store_b128 v255, v[6:9] offset:816
	ds_store_b128 v255, v[14:17] offset:3808
	ds_store_b128 v255, v[18:21] offset:4624
	ds_store_b128 v255, v[30:33] offset:7616
	ds_store_b128 v255, v[34:37] offset:8432
	ds_store_b128 v255, v[10:13] offset:1632
	ds_store_b128 v255, v[22:25] offset:2448
	ds_store_b128 v255, v[190:193] offset:5440
	ds_store_b128 v255, v[26:29] offset:6256
	ds_store_b128 v255, v[194:197] offset:9248
	ds_store_b128 v255, v[198:201] offset:10064
	s_and_saveexec_b32 s1, vcc_lo
	s_cbranch_execz .LBB0_13
; %bb.12:
	s_wait_alu 0xfffe
	v_add_co_u32 v8, s2, s2, v255
	s_wait_alu 0xf1ff
	v_add_co_ci_u32_e64 v9, null, s3, 0, s2
	s_clause 0x2
	global_load_b128 v[0:3], v[8:9], off offset:3264
	global_load_b128 v[4:7], v[8:9], off offset:7072
	;; [unrolled: 1-line block ×3, first 2 shown]
	ds_load_b128 v[12:15], v255 offset:3264
	ds_load_b128 v[16:19], v255 offset:7072
	;; [unrolled: 1-line block ×3, first 2 shown]
	s_wait_loadcnt_dscnt 0x202
	v_mul_f64_e32 v[24:25], v[14:15], v[2:3]
	v_mul_f64_e32 v[2:3], v[12:13], v[2:3]
	s_wait_loadcnt_dscnt 0x101
	v_mul_f64_e32 v[26:27], v[18:19], v[6:7]
	v_mul_f64_e32 v[6:7], v[16:17], v[6:7]
	;; [unrolled: 3-line block ×3, first 2 shown]
	v_fma_f64 v[10:11], v[12:13], v[0:1], -v[24:25]
	v_fma_f64 v[12:13], v[14:15], v[0:1], v[2:3]
	v_fma_f64 v[0:1], v[16:17], v[4:5], -v[26:27]
	v_fma_f64 v[2:3], v[18:19], v[4:5], v[6:7]
	;; [unrolled: 2-line block ×3, first 2 shown]
	ds_store_b128 v255, v[10:13] offset:3264
	ds_store_b128 v255, v[0:3] offset:7072
	;; [unrolled: 1-line block ×3, first 2 shown]
.LBB0_13:
	s_wait_alu 0xfffe
	s_or_b32 exec_lo, exec_lo, s1
	global_wb scope:SCOPE_SE
	s_wait_dscnt 0x0
	s_barrier_signal -1
	s_barrier_wait -1
	global_inv scope:SCOPE_SE
	ds_load_b128 v[200:203], v255
	ds_load_b128 v[208:211], v255 offset:816
	ds_load_b128 v[228:231], v255 offset:3808
	;; [unrolled: 1-line block ×11, first 2 shown]
	s_and_saveexec_b32 s1, vcc_lo
	s_cbranch_execz .LBB0_15
; %bb.14:
	ds_load_b128 v[180:183], v255 offset:3264
	ds_load_b128 v[184:187], v255 offset:7072
	;; [unrolled: 1-line block ×3, first 2 shown]
.LBB0_15:
	s_wait_alu 0xfffe
	s_or_b32 exec_lo, exec_lo, s1
	s_wait_dscnt 0x9
	v_add_f64_e32 v[0:1], v[200:201], v[228:229]
	s_wait_dscnt 0x7
	v_add_f64_e32 v[4:5], v[228:229], v[176:177]
	v_add_f64_e64 v[10:11], v[228:229], -v[176:177]
	s_wait_dscnt 0x6
	v_add_f64_e32 v[12:13], v[188:189], v[224:225]
	v_add_f64_e64 v[18:19], v[188:189], -v[224:225]
	;; [unrolled: 3-line block ×4, first 2 shown]
	v_add_f64_e64 v[8:9], v[230:231], -v[178:179]
	s_mov_b32 s2, 0xe8584caa
	s_mov_b32 s3, 0xbfebb67a
	;; [unrolled: 1-line block ×3, first 2 shown]
	s_wait_alu 0xfffe
	s_mov_b32 s10, s2
	global_wb scope:SCOPE_SE
	s_barrier_signal -1
	s_barrier_wait -1
	global_inv scope:SCOPE_SE
	v_add_f64_e32 v[2:3], v[202:203], v[230:231]
	v_add_f64_e32 v[6:7], v[230:231], v[178:179]
	;; [unrolled: 1-line block ×3, first 2 shown]
	v_add_f64_e64 v[16:17], v[190:191], -v[226:227]
	v_add_f64_e32 v[22:23], v[194:195], v[222:223]
	v_add_f64_e64 v[24:25], v[194:195], -v[222:223]
	v_add_f64_e32 v[30:31], v[198:199], v[206:207]
	;; [unrolled: 2-line block ×3, first 2 shown]
	v_add_f64_e32 v[38:39], v[186:187], v[174:175]
	v_add_f64_e64 v[40:41], v[186:187], -v[174:175]
	v_add_f64_e64 v[42:43], v[184:185], -v[172:173]
	v_add_f64_e32 v[176:177], v[0:1], v[176:177]
	v_add_f64_e32 v[0:1], v[208:209], v[188:189]
	v_add_f64_e32 v[178:179], v[2:3], v[178:179]
	v_add_f64_e32 v[2:3], v[210:211], v[190:191]
	s_delay_alu instid0(VALU_DEP_3) | instskip(SKIP_1) | instid1(VALU_DEP_3)
	v_add_f64_e32 v[188:189], v[0:1], v[224:225]
	v_add_f64_e32 v[0:1], v[212:213], v[192:193]
	v_add_f64_e32 v[190:191], v[2:3], v[226:227]
	v_add_f64_e32 v[2:3], v[214:215], v[194:195]
	s_delay_alu instid0(VALU_DEP_3) | instskip(SKIP_1) | instid1(VALU_DEP_3)
	v_add_f64_e32 v[192:193], v[0:1], v[220:221]
	v_add_f64_e32 v[0:1], v[216:217], v[196:197]
	v_add_f64_e32 v[194:195], v[2:3], v[222:223]
	v_add_f64_e32 v[2:3], v[218:219], v[198:199]
	s_delay_alu instid0(VALU_DEP_3) | instskip(SKIP_1) | instid1(VALU_DEP_3)
	v_add_f64_e32 v[196:197], v[0:1], v[204:205]
	v_add_f64_e32 v[0:1], v[180:181], v[184:185]
	;; [unrolled: 1-line block ×4, first 2 shown]
	s_delay_alu instid0(VALU_DEP_3)
	v_add_f64_e32 v[204:205], v[0:1], v[172:173]
	v_fma_f64 v[0:1], v[4:5], -0.5, v[200:201]
	v_fma_f64 v[4:5], v[12:13], -0.5, v[208:209]
	;; [unrolled: 1-line block ×5, first 2 shown]
	v_add_f64_e32 v[206:207], v[2:3], v[174:175]
	v_fma_f64 v[2:3], v[6:7], -0.5, v[202:203]
	v_fma_f64 v[6:7], v[14:15], -0.5, v[210:211]
	;; [unrolled: 1-line block ×5, first 2 shown]
	v_fma_f64 v[212:213], v[8:9], s[2:3], v[0:1]
	s_wait_alu 0xfffe
	v_fma_f64 v[200:201], v[8:9], s[10:11], v[0:1]
	scratch_load_b32 v0, off, off offset:248 th:TH_LOAD_LU ; 4-byte Folded Reload
	v_fma_f64 v[172:173], v[16:17], s[2:3], v[4:5]
	v_fma_f64 v[180:181], v[16:17], s[10:11], v[4:5]
	;; [unrolled: 1-line block ×18, first 2 shown]
	s_wait_loadcnt 0x0
	ds_store_b128 v0, v[176:179]
	ds_store_b128 v0, v[212:215] offset:16
	ds_store_b128 v0, v[200:203] offset:32
	scratch_load_b32 v0, off, off offset:256 th:TH_LOAD_LU ; 4-byte Folded Reload
	s_wait_loadcnt 0x0
	ds_store_b128 v0, v[188:191]
	ds_store_b128 v0, v[172:175] offset:16
	ds_store_b128 v0, v[180:183] offset:32
	scratch_load_b32 v0, off, off offset:240 th:TH_LOAD_LU ; 4-byte Folded Reload
	;; [unrolled: 5-line block ×3, first 2 shown]
	s_wait_loadcnt 0x0
	ds_store_b128 v0, v[196:199]
	ds_store_b128 v0, v[220:223] offset:16
	ds_store_b128 v0, v[216:219] offset:32
	s_and_saveexec_b32 s1, vcc_lo
	s_cbranch_execz .LBB0_17
; %bb.16:
	scratch_load_b32 v0, off, off offset:216 th:TH_LOAD_LU ; 4-byte Folded Reload
	s_wait_loadcnt 0x0
	v_lshlrev_b32_e32 v0, 4, v0
	ds_store_b128 v0, v[204:207]
	ds_store_b128 v0, v[224:227] offset:16
	ds_store_b128 v0, v[228:231] offset:32
.LBB0_17:
	s_wait_alu 0xfffe
	s_or_b32 exec_lo, exec_lo, s1
	global_wb scope:SCOPE_SE
	s_wait_dscnt 0x0
	s_barrier_signal -1
	s_barrier_wait -1
	global_inv scope:SCOPE_SE
	s_and_saveexec_b32 s1, s0
	s_cbranch_execz .LBB0_19
; %bb.18:
	ds_load_b128 v[176:179], v255
	ds_load_b128 v[212:215], v255 offset:672
	ds_load_b128 v[200:203], v255 offset:1344
	;; [unrolled: 1-line block ×16, first 2 shown]
.LBB0_19:
	s_wait_alu 0xfffe
	s_or_b32 exec_lo, exec_lo, s1
	global_wb scope:SCOPE_SE
	s_wait_dscnt 0x0
	s_barrier_signal -1
	s_barrier_wait -1
	global_inv scope:SCOPE_SE
	s_and_saveexec_b32 s33, s0
	s_cbranch_execz .LBB0_21
; %bb.20:
	scratch_load_b128 v[4:7], off, off offset:264 th:TH_LOAD_LU ; 16-byte Folded Reload
	s_mov_b32 s24, 0xeb564b22
	s_mov_b32 s42, 0x923c349f
	;; [unrolled: 1-line block ×20, first 2 shown]
	s_wait_alu 0xfffe
	s_mov_b32 s30, s36
	s_mov_b32 s40, s24
	;; [unrolled: 1-line block ×24, first 2 shown]
	s_wait_loadcnt 0x0
	v_mul_f64_e32 v[0:1], v[6:7], v[214:215]
	v_mul_f64_e32 v[2:3], v[6:7], v[212:213]
	scratch_load_b128 v[6:9], off, off offset:280 th:TH_LOAD_LU ; 16-byte Folded Reload
	v_fma_f64 v[0:1], v[4:5], v[212:213], v[0:1]
	v_fma_f64 v[2:3], v[4:5], v[214:215], -v[2:3]
	v_mul_f64_e32 v[4:5], v[74:75], v[50:51]
	s_delay_alu instid0(VALU_DEP_1) | instskip(SKIP_1) | instid1(VALU_DEP_1)
	v_fma_f64 v[10:11], v[72:73], v[48:49], v[4:5]
	v_mul_f64_e32 v[4:5], v[74:75], v[48:49]
	v_fma_f64 v[32:33], v[72:73], v[50:51], -v[4:5]
	v_mul_f64_e32 v[4:5], v[58:59], v[202:203]
	s_delay_alu instid0(VALU_DEP_2) | instskip(NEXT) | instid1(VALU_DEP_2)
	v_add_f64_e32 v[20:21], v[2:3], v[32:33]
	v_fma_f64 v[72:73], v[56:57], v[200:201], v[4:5]
	v_mul_f64_e32 v[4:5], v[58:59], v[200:201]
	s_delay_alu instid0(VALU_DEP_1) | instskip(SKIP_1) | instid1(VALU_DEP_1)
	v_fma_f64 v[84:85], v[56:57], v[202:203], -v[4:5]
	v_mul_f64_e32 v[4:5], v[70:71], v[54:55]
	v_fma_f64 v[74:75], v[68:69], v[52:53], v[4:5]
	v_mul_f64_e32 v[4:5], v[70:71], v[52:53]
	v_dual_mov_b32 v53, v11 :: v_dual_mov_b32 v52, v10
	scratch_store_b64 off, v[52:53], off offset:352 ; 8-byte Folded Spill
	v_add_f64_e32 v[52:53], v[0:1], v[52:53]
	v_fma_f64 v[68:69], v[68:69], v[54:55], -v[4:5]
	v_mul_f64_e32 v[4:5], v[130:131], v[210:211]
	s_delay_alu instid0(VALU_DEP_1) | instskip(SKIP_1) | instid1(VALU_DEP_1)
	v_fma_f64 v[70:71], v[128:129], v[208:209], v[4:5]
	v_mul_f64_e32 v[4:5], v[130:131], v[208:209]
	v_fma_f64 v[128:129], v[128:129], v[210:211], -v[4:5]
	v_mul_f64_e32 v[4:5], v[126:127], v[198:199]
	s_delay_alu instid0(VALU_DEP_1) | instskip(SKIP_1) | instid1(VALU_DEP_1)
	v_fma_f64 v[86:87], v[124:125], v[196:197], v[4:5]
	v_mul_f64_e32 v[4:5], v[126:127], v[196:197]
	;; [unrolled: 5-line block ×3, first 2 shown]
	v_fma_f64 v[132:133], v[132:133], v[186:187], -v[4:5]
	v_mul_f64_e32 v[4:5], v[118:119], v[222:223]
	s_delay_alu instid0(VALU_DEP_1) | instskip(SKIP_1) | instid1(VALU_DEP_2)
	v_fma_f64 v[126:127], v[116:117], v[220:221], v[4:5]
	v_mul_f64_e32 v[4:5], v[118:119], v[220:221]
	v_add_f64_e64 v[214:215], v[130:131], -v[126:127]
	s_delay_alu instid0(VALU_DEP_2) | instskip(SKIP_1) | instid1(VALU_DEP_1)
	v_fma_f64 v[116:117], v[116:117], v[222:223], -v[4:5]
	v_mul_f64_e32 v[4:5], v[170:171], v[194:195]
	v_fma_f64 v[134:135], v[168:169], v[192:193], v[4:5]
	v_mul_f64_e32 v[4:5], v[170:171], v[192:193]
	s_delay_alu instid0(VALU_DEP_1) | instskip(SKIP_3) | instid1(VALU_DEP_3)
	v_fma_f64 v[160:161], v[168:169], v[194:195], -v[4:5]
	v_mul_f64_e32 v[4:5], v[82:83], v[218:219]
	v_dual_mov_b32 v197, v155 :: v_dual_mov_b32 v196, v154
	v_dual_mov_b32 v195, v153 :: v_dual_mov_b32 v194, v152
	v_fma_f64 v[118:119], v[80:81], v[216:217], v[4:5]
	v_mul_f64_e32 v[4:5], v[82:83], v[216:217]
	v_add_f64_e64 v[216:217], v[132:133], -v[116:117]
	s_delay_alu instid0(VALU_DEP_3) | instskip(NEXT) | instid1(VALU_DEP_3)
	v_add_f64_e64 v[208:209], v[134:135], -v[118:119]
	v_fma_f64 v[80:81], v[80:81], v[218:219], -v[4:5]
	v_mul_f64_e32 v[4:5], v[166:167], v[182:183]
	s_delay_alu instid0(VALU_DEP_3) | instskip(NEXT) | instid1(VALU_DEP_3)
	v_mul_f64_e32 v[251:252], s[38:39], v[208:209]
	v_add_f64_e64 v[210:211], v[160:161], -v[80:81]
	s_delay_alu instid0(VALU_DEP_3) | instskip(SKIP_1) | instid1(VALU_DEP_3)
	v_fma_f64 v[162:163], v[164:165], v[180:181], v[4:5]
	v_mul_f64_e32 v[4:5], v[166:167], v[180:181]
	v_mul_f64_e32 v[253:254], s[38:39], v[210:211]
	;; [unrolled: 1-line block ×3, first 2 shown]
	s_delay_alu instid0(VALU_DEP_3) | instskip(SKIP_1) | instid1(VALU_DEP_1)
	v_fma_f64 v[164:165], v[164:165], v[182:183], -v[4:5]
	v_mul_f64_e32 v[4:5], v[110:111], v[206:207]
	v_fma_f64 v[82:83], v[108:109], v[204:205], v[4:5]
	v_mul_f64_e32 v[4:5], v[110:111], v[204:205]
	s_delay_alu instid0(VALU_DEP_2) | instskip(NEXT) | instid1(VALU_DEP_2)
	v_add_f64_e64 v[204:205], v[162:163], -v[82:83]
	v_fma_f64 v[108:109], v[108:109], v[206:207], -v[4:5]
	v_mul_f64_e32 v[4:5], v[66:67], v[174:175]
	s_delay_alu instid0(VALU_DEP_3) | instskip(NEXT) | instid1(VALU_DEP_3)
	v_mul_f64_e32 v[247:248], s[22:23], v[204:205]
	v_add_f64_e64 v[206:207], v[164:165], -v[108:109]
	s_delay_alu instid0(VALU_DEP_3) | instskip(SKIP_1) | instid1(VALU_DEP_3)
	v_fma_f64 v[166:167], v[64:65], v[172:173], v[4:5]
	v_mul_f64_e32 v[4:5], v[66:67], v[172:173]
	v_mul_f64_e32 v[249:250], s[22:23], v[206:207]
	s_delay_alu instid0(VALU_DEP_2) | instskip(SKIP_2) | instid1(VALU_DEP_2)
	v_fma_f64 v[168:169], v[64:65], v[174:175], -v[4:5]
	v_mul_f64_e32 v[4:5], v[78:79], v[226:227]
	v_dual_mov_b32 v64, v84 :: v_dual_mov_b32 v65, v85
	v_fma_f64 v[66:67], v[76:77], v[224:225], v[4:5]
	v_mul_f64_e32 v[4:5], v[78:79], v[224:225]
	s_delay_alu instid0(VALU_DEP_2) | instskip(NEXT) | instid1(VALU_DEP_2)
	v_add_f64_e64 v[200:201], v[166:167], -v[66:67]
	v_fma_f64 v[76:77], v[76:77], v[226:227], -v[4:5]
	s_wait_loadcnt 0x0
	v_mul_f64_e32 v[4:5], v[8:9], v[190:191]
	s_delay_alu instid0(VALU_DEP_3) | instskip(NEXT) | instid1(VALU_DEP_3)
	v_mul_f64_e32 v[152:153], s[26:27], v[200:201]
	v_add_f64_e64 v[202:203], v[168:169], -v[76:77]
	s_delay_alu instid0(VALU_DEP_3) | instskip(SKIP_2) | instid1(VALU_DEP_2)
	v_fma_f64 v[170:171], v[6:7], v[188:189], v[4:5]
	v_mul_f64_e32 v[4:5], v[8:9], v[188:189]
	v_mul_f64_e32 v[188:189], s[34:35], v[214:215]
	v_fma_f64 v[172:173], v[6:7], v[190:191], -v[4:5]
	v_mul_f64_e32 v[4:5], v[62:63], v[230:231]
	v_add_f64_e64 v[6:7], v[0:1], -v[10:11]
	v_add_f64_e32 v[0:1], v[176:177], v[0:1]
	s_delay_alu instid0(VALU_DEP_3) | instskip(SKIP_1) | instid1(VALU_DEP_4)
	v_fma_f64 v[78:79], v[60:61], v[228:229], v[4:5]
	v_mul_f64_e32 v[4:5], v[62:63], v[228:229]
	v_mul_f64_e32 v[8:9], s[34:35], v[6:7]
	v_mul_f64_e32 v[10:11], s[22:23], v[6:7]
	v_mul_f64_e32 v[12:13], s[42:43], v[6:7]
	s_wait_alu 0xfffe
	v_mul_f64_e32 v[14:15], s[40:41], v[6:7]
	v_mul_f64_e32 v[16:17], s[44:45], v[6:7]
	;; [unrolled: 1-line block ×3, first 2 shown]
	scratch_store_b64 off, v[0:1], off offset:384 ; 8-byte Folded Spill
	v_fma_f64 v[110:111], v[60:61], v[230:231], -v[4:5]
	v_mul_f64_e32 v[4:5], s[26:27], v[6:7]
	v_mul_f64_e32 v[6:7], s[30:31], v[6:7]
	v_fma_f64 v[24:25], v[20:21], s[10:11], v[8:9]
	v_fma_f64 v[8:9], v[20:21], s[10:11], -v[8:9]
	v_fma_f64 v[26:27], v[20:21], s[2:3], v[10:11]
	v_fma_f64 v[10:11], v[20:21], s[2:3], -v[10:11]
	;; [unrolled: 2-line block ×4, first 2 shown]
	v_fma_f64 v[36:37], v[20:21], s[16:17], -v[16:17]
	v_fma_f64 v[16:17], v[20:21], s[16:17], v[16:17]
	v_fma_f64 v[38:39], v[20:21], s[18:19], -v[18:19]
	v_fma_f64 v[18:19], v[20:21], s[18:19], v[18:19]
	v_add_f64_e64 v[198:199], v[172:173], -v[110:111]
	v_fma_f64 v[22:23], v[20:21], s[12:13], v[4:5]
	v_fma_f64 v[4:5], v[20:21], s[12:13], -v[4:5]
	v_fma_f64 v[40:41], v[20:21], s[20:21], -v[6:7]
	v_fma_f64 v[6:7], v[20:21], s[20:21], v[6:7]
	v_add_f64_e64 v[20:21], v[2:3], -v[32:33]
	v_add_f64_e32 v[0:1], v[178:179], v[10:11]
	v_add_f64_e32 v[2:3], v[178:179], v[2:3]
	;; [unrolled: 1-line block ×6, first 2 shown]
	v_add_f64_e64 v[36:37], v[72:73], -v[74:75]
	v_add_f64_e32 v[230:231], v[178:179], v[38:39]
	v_add_f64_e64 v[38:39], v[64:65], -v[68:69]
	v_add_f64_e32 v[220:221], v[178:179], v[14:15]
	v_add_f64_e32 v[22:23], v[178:179], v[22:23]
	;; [unrolled: 1-line block ×3, first 2 shown]
	v_mul_f64_e32 v[42:43], s[22:23], v[20:21]
	v_mul_f64_e32 v[44:45], s[42:43], v[20:21]
	scratch_store_b64 off, v[0:1], off offset:336 ; 8-byte Folded Spill
	v_mul_f64_e32 v[46:47], s[40:41], v[20:21]
	v_mul_f64_e32 v[34:35], s[34:35], v[20:21]
	;; [unrolled: 1-line block ×5, first 2 shown]
	v_fma_f64 v[58:59], v[52:53], s[2:3], -v[42:43]
	v_fma_f64 v[42:43], v[52:53], s[2:3], v[42:43]
	v_fma_f64 v[60:61], v[52:53], s[0:1], -v[44:45]
	v_fma_f64 v[44:45], v[52:53], s[0:1], v[44:45]
	v_fma_f64 v[62:63], v[52:53], s[14:15], -v[46:47]
	v_fma_f64 v[56:57], v[52:53], s[10:11], -v[34:35]
	v_fma_f64 v[182:183], v[52:53], s[18:19], v[50:51]
	v_fma_f64 v[50:51], v[52:53], s[18:19], -v[50:51]
	v_fma_f64 v[34:35], v[52:53], s[10:11], v[34:35]
	v_fma_f64 v[46:47], v[52:53], s[14:15], v[46:47]
	;; [unrolled: 1-line block ×3, first 2 shown]
	v_fma_f64 v[48:49], v[52:53], s[20:21], -v[48:49]
	v_add_f64_e32 v[245:246], v[176:177], v[58:59]
	v_add_f64_e32 v[0:1], v[176:177], v[42:43]
	v_mul_f64_e32 v[58:59], s[34:35], v[198:199]
	v_add_f64_e32 v[56:57], v[176:177], v[56:57]
	v_add_f64_e32 v[232:233], v[176:177], v[182:183]
	v_dual_mov_b32 v183, v91 :: v_dual_mov_b32 v182, v90
	v_add_f64_e32 v[222:223], v[176:177], v[46:47]
	v_mul_f64_e32 v[46:47], s[36:37], v[38:39]
	v_add_f64_e32 v[241:242], v[176:177], v[34:35]
	v_add_f64_e32 v[42:43], v[176:177], v[184:185]
	v_dual_mov_b32 v34, v128 :: v_dual_mov_b32 v35, v129
	v_dual_mov_b32 v181, v89 :: v_dual_mov_b32 v180, v88
	v_mul_f64_e32 v[90:91], s[50:51], v[36:37]
	v_mul_f64_e32 v[128:129], s[44:45], v[206:207]
	scratch_store_b64 off, v[0:1], off offset:328 ; 8-byte Folded Spill
	v_add_f64_e32 v[0:1], v[178:179], v[28:29]
	scratch_store_b64 off, v[0:1], off offset:320 ; 8-byte Folded Spill
	v_add_f64_e32 v[0:1], v[176:177], v[60:61]
	v_mul_f64_e32 v[60:61], s[28:29], v[200:201]
	scratch_store_b64 off, v[0:1], off offset:312 ; 8-byte Folded Spill
	v_add_f64_e32 v[0:1], v[178:179], v[12:13]
	scratch_store_b64 off, v[0:1], off offset:368 ; 8-byte Folded Spill
	v_add_f64_e32 v[0:1], v[176:177], v[44:45]
	v_mul_f64_e32 v[44:45], s[36:37], v[36:37]
	scratch_store_b64 off, v[0:1], off offset:360 ; 8-byte Folded Spill
	v_add_f64_e32 v[0:1], v[178:179], v[30:31]
	v_mul_f64_e32 v[30:31], s[30:31], v[210:211]
	scratch_store_b64 off, v[0:1], off offset:280 ; 8-byte Folded Spill
	v_add_f64_e32 v[0:1], v[176:177], v[62:63]
	scratch_store_b64 off, v[32:33], off offset:344 ; 8-byte Folded Spill
	v_mul_f64_e32 v[32:33], s[26:27], v[20:21]
	v_mul_f64_e32 v[20:21], s[44:45], v[20:21]
	;; [unrolled: 1-line block ×3, first 2 shown]
	scratch_store_b64 off, v[0:1], off offset:264 ; 8-byte Folded Spill
	v_add_f64_e32 v[0:1], v[178:179], v[16:17]
	v_fma_f64 v[54:55], v[52:53], s[12:13], -v[32:33]
	v_fma_f64 v[174:175], v[52:53], s[16:17], v[20:21]
	v_fma_f64 v[20:21], v[52:53], s[16:17], -v[20:21]
	v_fma_f64 v[32:33], v[52:53], s[12:13], v[32:33]
	scratch_store_b64 off, v[0:1], off offset:296 ; 8-byte Folded Spill
	v_add_f64_e32 v[52:53], v[176:177], v[54:55]
	v_add_f64_e32 v[54:55], v[178:179], v[4:5]
	;; [unrolled: 1-line block ×6, first 2 shown]
	v_dual_mov_b32 v32, v70 :: v_dual_mov_b32 v33, v71
	v_mul_f64_e32 v[70:71], s[26:27], v[214:215]
	scratch_store_b64 off, v[0:1], off offset:304 ; 8-byte Folded Spill
	v_add_f64_e32 v[0:1], v[178:179], v[18:19]
	scratch_store_b64 off, v[0:1], off offset:248 ; 8-byte Folded Spill
	v_add_f64_e32 v[0:1], v[176:177], v[50:51]
	;; [unrolled: 2-line block ×3, first 2 shown]
	v_fma_f64 v[6:7], v[4:5], s[20:21], v[44:45]
	v_add_f64_e64 v[178:179], v[170:171], -v[78:79]
	s_clause 0x1
	scratch_store_b64 off, v[2:3], off offset:376
	scratch_store_b64 off, v[0:1], off offset:232
	v_add_f64_e32 v[10:11], v[6:7], v[22:23]
	v_add_f64_e32 v[6:7], v[72:73], v[74:75]
	;; [unrolled: 1-line block ×3, first 2 shown]
	s_clause 0x2
	scratch_store_b64 off, v[0:1], off offset:240
	scratch_store_b64 off, v[74:75], off offset:392
	;; [unrolled: 1-line block ×3, first 2 shown]
	v_fma_f64 v[8:9], v[6:7], s[20:21], -v[46:47]
	v_mul_f64_e32 v[0:1], s[42:43], v[214:215]
	s_clause 0x16
	scratch_store_b64 off, v[68:69], off offset:400
	scratch_store_b64 off, v[78:79], off offset:408
	;; [unrolled: 1-line block ×21, first 2 shown]
	scratch_store_b128 off, v[136:139], off offset:216
	scratch_store_b64 off, v[124:125], off offset:728
	v_mul_f64_e32 v[136:137], s[42:43], v[216:217]
	v_dual_mov_b32 v72, v86 :: v_dual_mov_b32 v73, v87
	v_mul_f64_e32 v[68:69], s[30:31], v[178:179]
	v_dual_mov_b32 v86, v104 :: v_dual_mov_b32 v87, v105
	v_dual_mov_b32 v88, v106 :: v_dual_mov_b32 v89, v107
	s_delay_alu instid0(VALU_DEP_4)
	v_add_f64_e64 v[218:219], v[32:33], -v[72:73]
	v_add_f64_e32 v[226:227], v[32:33], v[72:73]
	v_dual_mov_b32 v104, v156 :: v_dual_mov_b32 v105, v157
	v_dual_mov_b32 v106, v158 :: v_dual_mov_b32 v107, v159
	v_mul_f64_e32 v[74:75], s[34:35], v[200:201]
	v_mul_f64_e32 v[84:85], s[50:51], v[178:179]
	v_add_f64_e32 v[12:13], v[8:9], v[52:53]
	v_add_f64_e32 v[8:9], v[172:173], v[110:111]
	v_mul_f64_e32 v[52:53], s[34:35], v[178:179]
	v_mul_f64_e32 v[110:111], s[46:47], v[210:211]
	s_delay_alu instid0(VALU_DEP_3) | instskip(NEXT) | instid1(VALU_DEP_3)
	v_fma_f64 v[184:185], v[8:9], s[0:1], -v[84:85]
	v_fma_f64 v[14:15], v[8:9], s[10:11], v[52:53]
	s_delay_alu instid0(VALU_DEP_1) | instskip(SKIP_2) | instid1(VALU_DEP_2)
	v_add_f64_e32 v[14:15], v[14:15], v[10:11]
	v_add_f64_e32 v[10:11], v[170:171], v[78:79]
	v_mul_f64_e32 v[78:79], s[50:51], v[38:39]
	v_fma_f64 v[20:21], v[10:11], s[10:11], -v[58:59]
	s_delay_alu instid0(VALU_DEP_1) | instskip(SKIP_2) | instid1(VALU_DEP_2)
	v_add_f64_e32 v[20:21], v[20:21], v[12:13]
	v_add_f64_e32 v[12:13], v[168:169], v[76:77]
	v_mul_f64_e32 v[76:77], s[50:51], v[200:201]
	v_fma_f64 v[22:23], v[12:13], s[18:19], v[60:61]
	v_fma_f64 v[154:155], v[12:13], s[12:13], -v[152:153]
	s_delay_alu instid0(VALU_DEP_2) | instskip(SKIP_2) | instid1(VALU_DEP_2)
	v_add_f64_e32 v[22:23], v[22:23], v[14:15]
	v_add_f64_e32 v[14:15], v[166:167], v[66:67]
	v_add_f64_e64 v[166:167], v[34:35], -v[124:125]
	v_fma_f64 v[24:25], v[14:15], s[18:19], -v[62:63]
	s_delay_alu instid0(VALU_DEP_2) | instskip(SKIP_1) | instid1(VALU_DEP_3)
	v_mul_f64_e32 v[168:169], s[24:25], v[166:167]
	v_mul_f64_e32 v[172:173], s[26:27], v[166:167]
	v_add_f64_e32 v[24:25], v[24:25], v[20:21]
	v_add_f64_e32 v[20:21], v[164:165], v[108:109]
	v_mul_f64_e32 v[164:165], s[24:25], v[218:219]
	v_mul_f64_e32 v[108:109], s[48:49], v[214:215]
	s_delay_alu instid0(VALU_DEP_3) | instskip(NEXT) | instid1(VALU_DEP_1)
	v_fma_f64 v[26:27], v[20:21], s[2:3], v[247:248]
	v_add_f64_e32 v[26:27], v[26:27], v[22:23]
	v_add_f64_e32 v[22:23], v[162:163], v[82:83]
	v_mul_f64_e32 v[82:83], s[40:41], v[216:217]
	s_delay_alu instid0(VALU_DEP_2) | instskip(NEXT) | instid1(VALU_DEP_1)
	v_fma_f64 v[28:29], v[22:23], s[2:3], -v[249:250]
	v_add_f64_e32 v[28:29], v[28:29], v[24:25]
	v_add_f64_e32 v[24:25], v[160:161], v[80:81]
	v_mul_f64_e32 v[160:161], s[50:51], v[208:209]
	v_mul_f64_e32 v[80:81], s[48:49], v[216:217]
	s_delay_alu instid0(VALU_DEP_3) | instskip(NEXT) | instid1(VALU_DEP_3)
	v_fma_f64 v[48:49], v[24:25], s[16:17], v[251:252]
	v_fma_f64 v[162:163], v[24:25], s[0:1], -v[160:161]
	s_delay_alu instid0(VALU_DEP_2) | instskip(SKIP_2) | instid1(VALU_DEP_2)
	v_add_f64_e32 v[48:49], v[48:49], v[26:27]
	v_add_f64_e32 v[26:27], v[134:135], v[118:119]
	v_mul_f64_e32 v[118:119], s[38:39], v[216:217]
	v_fma_f64 v[50:51], v[26:27], s[16:17], -v[253:254]
	v_fma_f64 v[134:135], v[26:27], s[2:3], v[212:213]
	s_delay_alu instid0(VALU_DEP_2) | instskip(SKIP_2) | instid1(VALU_DEP_2)
	v_add_f64_e32 v[50:51], v[50:51], v[28:29]
	v_add_f64_e32 v[28:29], v[132:133], v[116:117]
	v_mul_f64_e32 v[116:117], s[34:35], v[210:211]
	v_fma_f64 v[174:175], v[28:29], s[0:1], v[0:1]
	v_fma_f64 v[0:1], v[28:29], s[0:1], -v[0:1]
	s_delay_alu instid0(VALU_DEP_2) | instskip(SKIP_3) | instid1(VALU_DEP_3)
	v_add_f64_e32 v[48:49], v[174:175], v[48:49]
	v_add_f64_e32 v[174:175], v[130:131], v[126:127]
	v_mul_f64_e32 v[126:127], s[44:45], v[204:205]
	v_mul_f64_e32 v[130:131], s[34:35], v[208:209]
	v_fma_f64 v[176:177], v[174:175], s[0:1], -v[136:137]
	s_delay_alu instid0(VALU_DEP_1) | instskip(SKIP_2) | instid1(VALU_DEP_2)
	v_add_f64_e32 v[2:3], v[176:177], v[50:51]
	v_add_f64_e32 v[176:177], v[34:35], v[124:125]
	v_mul_f64_e32 v[124:125], s[36:37], v[200:201]
	v_fma_f64 v[50:51], v[176:177], s[14:15], v[164:165]
	s_delay_alu instid0(VALU_DEP_2) | instskip(NEXT) | instid1(VALU_DEP_2)
	v_fma_f64 v[190:191], v[12:13], s[20:21], -v[124:125]
	v_add_f64_e32 v[18:19], v[50:51], v[48:49]
	v_fma_f64 v[48:49], v[226:227], s[14:15], -v[168:169]
	v_fma_f64 v[50:51], v[174:175], s[16:17], v[118:119]
	s_delay_alu instid0(VALU_DEP_2)
	v_add_f64_e32 v[16:17], v[48:49], v[2:3]
	v_fma_f64 v[2:3], v[4:5], s[20:21], -v[44:45]
	v_fma_f64 v[44:45], v[6:7], s[20:21], v[46:47]
	v_fma_f64 v[46:47], v[8:9], s[10:11], -v[52:53]
	v_mul_f64_e32 v[52:53], s[22:23], v[36:37]
	scratch_store_b128 off, v[16:19], off offset:440 ; 16-byte Folded Spill
	v_add_f64_e32 v[2:3], v[2:3], v[54:55]
	v_add_f64_e32 v[44:45], v[44:45], v[234:235]
	v_mul_f64_e32 v[234:235], s[30:31], v[206:207]
	s_delay_alu instid0(VALU_DEP_3) | instskip(SKIP_1) | instid1(VALU_DEP_1)
	v_add_f64_e32 v[2:3], v[46:47], v[2:3]
	v_fma_f64 v[46:47], v[10:11], s[10:11], v[58:59]
	v_add_f64_e32 v[44:45], v[46:47], v[44:45]
	v_fma_f64 v[46:47], v[12:13], s[18:19], -v[60:61]
	v_mul_f64_e32 v[60:61], s[40:41], v[178:179]
	s_delay_alu instid0(VALU_DEP_2) | instskip(SKIP_2) | instid1(VALU_DEP_2)
	v_add_f64_e32 v[2:3], v[46:47], v[2:3]
	v_fma_f64 v[46:47], v[14:15], s[18:19], v[62:63]
	v_mul_f64_e32 v[62:63], s[40:41], v[198:199]
	v_add_f64_e32 v[44:45], v[46:47], v[44:45]
	v_fma_f64 v[46:47], v[20:21], s[2:3], -v[247:248]
	v_mul_f64_e32 v[247:248], s[26:27], v[210:211]
	s_delay_alu instid0(VALU_DEP_2) | instskip(SKIP_2) | instid1(VALU_DEP_2)
	v_add_f64_e32 v[2:3], v[46:47], v[2:3]
	v_fma_f64 v[46:47], v[22:23], s[2:3], v[249:250]
	v_mul_f64_e32 v[249:250], s[28:29], v[214:215]
	v_add_f64_e32 v[44:45], v[46:47], v[44:45]
	v_fma_f64 v[46:47], v[24:25], s[16:17], -v[251:252]
	v_mul_f64_e32 v[251:252], s[28:29], v[216:217]
	s_delay_alu instid0(VALU_DEP_2) | instskip(SKIP_2) | instid1(VALU_DEP_3)
	v_add_f64_e32 v[2:3], v[46:47], v[2:3]
	v_fma_f64 v[46:47], v[26:27], s[16:17], v[253:254]
	v_mul_f64_e32 v[253:254], s[42:43], v[218:219]
	v_add_f64_e32 v[0:1], v[0:1], v[2:3]
	s_delay_alu instid0(VALU_DEP_3) | instskip(SKIP_4) | instid1(VALU_DEP_4)
	v_add_f64_e32 v[44:45], v[46:47], v[44:45]
	v_fma_f64 v[2:3], v[174:175], s[0:1], v[136:137]
	v_fma_f64 v[46:47], v[226:227], s[14:15], v[168:169]
	v_mul_f64_e32 v[136:137], s[48:49], v[200:201]
	v_mul_f64_e32 v[168:169], s[30:31], v[204:205]
	v_add_f64_e32 v[2:3], v[2:3], v[44:45]
	v_fma_f64 v[44:45], v[176:177], s[14:15], -v[164:165]
	v_mul_f64_e32 v[164:165], s[48:49], v[202:203]
	s_delay_alu instid0(VALU_DEP_3) | instskip(NEXT) | instid1(VALU_DEP_3)
	v_add_f64_e32 v[16:17], v[46:47], v[2:3]
	v_add_f64_e32 v[18:19], v[44:45], v[0:1]
	v_mul_f64_e32 v[0:1], s[38:39], v[36:37]
	v_mul_f64_e32 v[44:45], s[38:39], v[38:39]
	scratch_store_b128 off, v[16:19], off offset:544 ; 16-byte Folded Spill
	v_fma_f64 v[2:3], v[4:5], s[16:17], v[0:1]
	v_fma_f64 v[46:47], v[6:7], s[16:17], -v[44:45]
	v_fma_f64 v[0:1], v[4:5], s[16:17], -v[0:1]
	v_fma_f64 v[44:45], v[6:7], s[16:17], v[44:45]
	s_delay_alu instid0(VALU_DEP_4) | instskip(NEXT) | instid1(VALU_DEP_4)
	v_add_f64_e32 v[2:3], v[2:3], v[237:238]
	v_add_f64_e32 v[46:47], v[46:47], v[56:57]
	v_fma_f64 v[56:57], v[8:9], s[14:15], v[60:61]
	v_mul_f64_e32 v[237:238], s[26:27], v[208:209]
	v_add_f64_e32 v[0:1], v[0:1], v[239:240]
	v_add_f64_e32 v[44:45], v[44:45], v[241:242]
	s_delay_alu instid0(VALU_DEP_4) | instskip(SKIP_1) | instid1(VALU_DEP_1)
	v_add_f64_e32 v[2:3], v[56:57], v[2:3]
	v_fma_f64 v[56:57], v[10:11], s[14:15], -v[62:63]
	v_add_f64_e32 v[46:47], v[56:57], v[46:47]
	v_fma_f64 v[56:57], v[12:13], s[2:3], v[136:137]
	s_delay_alu instid0(VALU_DEP_1) | instskip(SKIP_1) | instid1(VALU_DEP_1)
	v_add_f64_e32 v[2:3], v[56:57], v[2:3]
	v_fma_f64 v[56:57], v[14:15], s[2:3], -v[164:165]
	v_add_f64_e32 v[46:47], v[56:57], v[46:47]
	v_fma_f64 v[56:57], v[20:21], s[20:21], v[168:169]
	s_delay_alu instid0(VALU_DEP_1) | instskip(SKIP_1) | instid1(VALU_DEP_1)
	;; [unrolled: 5-line block ×5, first 2 shown]
	v_add_f64_e32 v[18:19], v[56:57], v[2:3]
	v_mul_f64_e32 v[2:3], s[42:43], v[166:167]
	v_fma_f64 v[56:57], v[226:227], s[0:1], -v[2:3]
	v_fma_f64 v[2:3], v[226:227], s[0:1], v[2:3]
	s_delay_alu instid0(VALU_DEP_2)
	v_add_f64_e32 v[16:17], v[56:57], v[46:47]
	v_fma_f64 v[46:47], v[8:9], s[14:15], -v[60:61]
	v_mul_f64_e32 v[60:61], s[38:39], v[218:219]
	v_mul_f64_e32 v[56:57], s[38:39], v[166:167]
	scratch_store_b128 off, v[16:19], off offset:608 ; 16-byte Folded Spill
	v_add_f64_e32 v[0:1], v[46:47], v[0:1]
	v_fma_f64 v[46:47], v[10:11], s[14:15], v[62:63]
	v_mul_f64_e32 v[62:63], s[26:27], v[216:217]
	s_delay_alu instid0(VALU_DEP_2) | instskip(SKIP_4) | instid1(VALU_DEP_4)
	v_add_f64_e32 v[44:45], v[46:47], v[44:45]
	v_fma_f64 v[46:47], v[12:13], s[2:3], -v[136:137]
	v_dual_mov_b32 v136, v144 :: v_dual_mov_b32 v137, v145
	v_dual_mov_b32 v138, v146 :: v_dual_mov_b32 v139, v147
	v_mul_f64_e32 v[144:145], s[22:23], v[178:179]
	v_add_f64_e32 v[0:1], v[46:47], v[0:1]
	v_fma_f64 v[46:47], v[14:15], s[2:3], v[164:165]
	v_fma_f64 v[164:165], v[8:9], s[20:21], v[68:69]
	v_fma_f64 v[68:69], v[8:9], s[20:21], -v[68:69]
	v_fma_f64 v[146:147], v[8:9], s[2:3], -v[144:145]
	s_delay_alu instid0(VALU_DEP_4) | instskip(SKIP_1) | instid1(VALU_DEP_1)
	v_add_f64_e32 v[44:45], v[46:47], v[44:45]
	v_fma_f64 v[46:47], v[20:21], s[20:21], -v[168:169]
	v_add_f64_e32 v[0:1], v[46:47], v[0:1]
	v_fma_f64 v[46:47], v[22:23], s[20:21], v[234:235]
	v_fma_f64 v[234:235], v[12:13], s[10:11], v[74:75]
	s_delay_alu instid0(VALU_DEP_2) | instskip(SKIP_1) | instid1(VALU_DEP_1)
	v_add_f64_e32 v[44:45], v[46:47], v[44:45]
	v_fma_f64 v[46:47], v[24:25], s[12:13], -v[237:238]
	v_add_f64_e32 v[0:1], v[46:47], v[0:1]
	v_fma_f64 v[46:47], v[26:27], s[12:13], v[247:248]
	s_delay_alu instid0(VALU_DEP_1) | instskip(SKIP_2) | instid1(VALU_DEP_2)
	v_add_f64_e32 v[44:45], v[46:47], v[44:45]
	v_fma_f64 v[46:47], v[28:29], s[18:19], -v[249:250]
	v_mul_f64_e32 v[249:250], s[24:25], v[204:205]
	v_add_f64_e32 v[0:1], v[46:47], v[0:1]
	v_fma_f64 v[46:47], v[174:175], s[18:19], v[251:252]
	v_mul_f64_e32 v[251:252], s[24:25], v[206:207]
	s_delay_alu instid0(VALU_DEP_2) | instskip(SKIP_2) | instid1(VALU_DEP_3)
	v_add_f64_e32 v[44:45], v[46:47], v[44:45]
	v_fma_f64 v[46:47], v[176:177], s[0:1], -v[253:254]
	v_mul_f64_e32 v[253:254], s[46:47], v[208:209]
	v_add_f64_e32 v[16:17], v[2:3], v[44:45]
	s_delay_alu instid0(VALU_DEP_3)
	v_add_f64_e32 v[18:19], v[46:47], v[0:1]
	v_mul_f64_e32 v[0:1], s[46:47], v[36:37]
	v_fma_f64 v[2:3], v[4:5], s[0:1], v[90:91]
	v_fma_f64 v[46:47], v[6:7], s[0:1], -v[78:79]
	v_mul_f64_e32 v[44:45], s[28:29], v[204:205]
	s_clause 0x1
	scratch_store_b128 off, v[16:19], off offset:624
	scratch_store_b64 off, v[0:1], off offset:640
	v_fma_f64 v[241:242], v[4:5], s[18:19], -v[0:1]
	v_mul_f64_e32 v[0:1], s[46:47], v[38:39]
	v_add_f64_e32 v[2:3], v[2:3], v[243:244]
	v_add_f64_e32 v[46:47], v[46:47], v[245:246]
	v_fma_f64 v[245:246], v[4:5], s[14:15], -v[192:193]
	v_mul_f64_e32 v[18:19], s[40:41], v[214:215]
	v_mul_f64_e32 v[16:17], s[28:29], v[166:167]
	v_add_f64_e32 v[40:41], v[241:242], v[40:41]
	scratch_store_b64 off, v[0:1], off offset:648 ; 8-byte Folded Spill
	v_fma_f64 v[241:242], v[6:7], s[18:19], v[0:1]
	v_mul_f64_e32 v[0:1], s[44:45], v[178:179]
	v_add_f64_e32 v[2:3], v[164:165], v[2:3]
	v_mul_f64_e32 v[164:165], s[30:31], v[198:199]
	v_add_f64_e32 v[230:231], v[245:246], v[230:231]
	v_add_f64_e32 v[42:43], v[241:242], v[42:43]
	scratch_store_b64 off, v[0:1], off offset:656 ; 8-byte Folded Spill
	v_fma_f64 v[241:242], v[8:9], s[16:17], -v[0:1]
	v_mul_f64_e32 v[0:1], s[44:45], v[198:199]
	v_fma_f64 v[168:169], v[10:11], s[20:21], -v[164:165]
	v_add_f64_e32 v[146:147], v[146:147], v[230:231]
	v_add_f64_e32 v[2:3], v[234:235], v[2:3]
	v_mul_f64_e32 v[234:235], s[34:35], v[202:203]
	v_add_f64_e32 v[40:41], v[241:242], v[40:41]
	scratch_store_b64 off, v[0:1], off offset:664 ; 8-byte Folded Spill
	v_fma_f64 v[241:242], v[10:11], s[16:17], v[0:1]
	v_mul_f64_e32 v[0:1], s[40:41], v[200:201]
	v_add_f64_e32 v[46:47], v[168:169], v[46:47]
	v_dual_mov_b32 v171, v143 :: v_dual_mov_b32 v170, v142
	v_dual_mov_b32 v169, v141 :: v_dual_mov_b32 v168, v140
	v_add_f64_e32 v[146:147], v[154:155], v[146:147]
	v_mul_f64_e32 v[154:155], s[26:27], v[202:203]
	v_fma_f64 v[237:238], v[14:15], s[10:11], -v[234:235]
	v_mul_f64_e32 v[140:141], s[38:39], v[214:215]
	s_mov_b32 s39, 0x3fc7851a
	s_mov_b32 s38, s26
	v_mul_f64_e32 v[200:201], s[44:45], v[200:201]
	s_wait_alu 0xfffe
	v_mul_f64_e32 v[48:49], s[38:39], v[198:199]
	v_mul_f64_e32 v[214:215], s[30:31], v[214:215]
	v_add_f64_e32 v[42:43], v[241:242], v[42:43]
	scratch_store_b64 off, v[0:1], off offset:672 ; 8-byte Folded Spill
	v_fma_f64 v[241:242], v[12:13], s[14:15], -v[0:1]
	v_mul_f64_e32 v[0:1], s[40:41], v[202:203]
	v_fma_f64 v[230:231], v[14:15], s[12:13], v[154:155]
	v_add_f64_e32 v[46:47], v[237:238], v[46:47]
	v_fma_f64 v[237:238], v[20:21], s[14:15], v[249:250]
	v_fma_f64 v[58:59], v[10:11], s[12:13], v[48:49]
	v_fma_f64 v[48:49], v[10:11], s[12:13], -v[48:49]
	v_add_f64_e32 v[40:41], v[241:242], v[40:41]
	scratch_store_b64 off, v[0:1], off offset:680 ; 8-byte Folded Spill
	v_fma_f64 v[241:242], v[14:15], s[14:15], v[0:1]
	v_mul_f64_e32 v[0:1], s[42:43], v[204:205]
	v_add_f64_e32 v[2:3], v[237:238], v[2:3]
	v_fma_f64 v[237:238], v[22:23], s[14:15], -v[251:252]
	s_delay_alu instid0(VALU_DEP_4)
	v_add_f64_e32 v[42:43], v[241:242], v[42:43]
	scratch_store_b64 off, v[0:1], off offset:688 ; 8-byte Folded Spill
	v_fma_f64 v[241:242], v[20:21], s[0:1], -v[0:1]
	v_mul_f64_e32 v[0:1], s[42:43], v[206:207]
	s_mov_b32 s43, 0x3fe0d888
	s_mov_b32 s42, s34
	s_wait_alu 0xfffe
	v_mul_f64_e32 v[156:157], s[42:43], v[204:205]
	v_add_f64_e32 v[46:47], v[237:238], v[46:47]
	v_fma_f64 v[237:238], v[24:25], s[18:19], v[253:254]
	v_mul_f64_e32 v[204:205], s[26:27], v[204:205]
	v_add_f64_e32 v[40:41], v[241:242], v[40:41]
	scratch_store_b64 off, v[0:1], off offset:696 ; 8-byte Folded Spill
	v_fma_f64 v[241:242], v[22:23], s[0:1], v[0:1]
	v_mul_f64_e32 v[0:1], s[22:23], v[208:209]
	v_fma_f64 v[158:159], v[20:21], s[10:11], -v[156:157]
	v_add_f64_e32 v[2:3], v[237:238], v[2:3]
	v_fma_f64 v[237:238], v[26:27], s[18:19], -v[110:111]
	v_add_f64_e32 v[42:43], v[241:242], v[42:43]
	scratch_store_b64 off, v[0:1], off offset:704 ; 8-byte Folded Spill
	v_fma_f64 v[241:242], v[24:25], s[2:3], -v[0:1]
	v_mul_f64_e32 v[0:1], s[34:35], v[216:217]
	v_add_f64_e32 v[146:147], v[158:159], v[146:147]
	v_mul_f64_e32 v[158:159], s[42:43], v[206:207]
	v_add_f64_e32 v[46:47], v[237:238], v[46:47]
	v_fma_f64 v[237:238], v[28:29], s[12:13], v[70:71]
	v_mul_f64_e32 v[216:217], s[30:31], v[216:217]
	v_add_f64_e32 v[42:43], v[134:135], v[42:43]
	v_dual_mov_b32 v132, v148 :: v_dual_mov_b32 v133, v149
	v_fma_f64 v[142:143], v[174:175], s[10:11], v[0:1]
	v_dual_mov_b32 v134, v150 :: v_dual_mov_b32 v135, v151
	v_mul_f64_e32 v[148:149], s[22:23], v[198:199]
	v_add_f64_e32 v[146:147], v[162:163], v[146:147]
	v_mul_f64_e32 v[162:163], s[50:51], v[210:211]
	v_add_f64_e32 v[2:3], v[237:238], v[2:3]
	v_fma_f64 v[237:238], v[174:175], s[12:13], -v[62:63]
	v_add_f64_e32 v[40:41], v[241:242], v[40:41]
	v_fma_f64 v[241:242], v[28:29], s[10:11], -v[188:189]
	scratch_store_b64 off, v[0:1], off offset:712 ; 8-byte Folded Spill
	v_mul_f64_e32 v[0:1], s[26:27], v[218:219]
	v_mul_f64_e32 v[210:211], s[24:25], v[210:211]
	v_fma_f64 v[62:63], v[174:175], s[12:13], v[62:63]
	v_add_f64_e32 v[42:43], v[142:143], v[42:43]
	v_mul_f64_e32 v[142:143], s[40:41], v[38:39]
	v_fma_f64 v[150:151], v[10:11], s[2:3], v[148:149]
	v_add_f64_e32 v[46:47], v[237:238], v[46:47]
	v_fma_f64 v[237:238], v[176:177], s[16:17], v[60:61]
	v_add_f64_e32 v[40:41], v[241:242], v[40:41]
	v_fma_f64 v[241:242], v[176:177], s[12:13], -v[0:1]
	scratch_store_b64 off, v[0:1], off offset:720 ; 8-byte Folded Spill
	v_mul_f64_e32 v[0:1], s[26:27], v[38:39]
	v_fma_f64 v[245:246], v[6:7], s[14:15], v[142:143]
	v_add_f64_e32 v[239:240], v[237:238], v[2:3]
	v_fma_f64 v[237:238], v[226:227], s[16:17], -v[56:57]
	v_mul_f64_e32 v[2:3], s[28:29], v[218:219]
	v_add_f64_e32 v[243:244], v[241:242], v[40:41]
	v_fma_f64 v[241:242], v[226:227], s[12:13], v[172:173]
	v_mul_f64_e32 v[40:41], s[30:31], v[208:209]
	v_fma_f64 v[186:187], v[6:7], s[12:13], v[0:1]
	v_mul_f64_e32 v[208:209], s[24:25], v[208:209]
	v_fma_f64 v[56:57], v[226:227], s[16:17], v[56:57]
	v_fma_f64 v[0:1], v[6:7], s[12:13], -v[0:1]
	v_add_f64_e32 v[232:233], v[245:246], v[232:233]
	v_fma_f64 v[245:246], v[4:5], s[2:3], -v[52:53]
	v_add_f64_e32 v[237:238], v[237:238], v[46:47]
	v_mul_f64_e32 v[46:47], s[50:51], v[202:203]
	v_add_f64_e32 v[241:242], v[241:242], v[42:43]
	v_mul_f64_e32 v[42:43], s[28:29], v[206:207]
	;; [unrolled: 2-line block ×3, first 2 shown]
	v_add_f64_e32 v[150:151], v[150:151], v[232:233]
	v_add_f64_e32 v[224:225], v[245:246], v[224:225]
	s_delay_alu instid0(VALU_DEP_2) | instskip(SKIP_1) | instid1(VALU_DEP_1)
	v_add_f64_e32 v[150:151], v[230:231], v[150:151]
	v_fma_f64 v[230:231], v[22:23], s[10:11], v[158:159]
	v_add_f64_e32 v[150:151], v[230:231], v[150:151]
	v_fma_f64 v[230:231], v[26:27], s[0:1], v[162:163]
	s_delay_alu instid0(VALU_DEP_1) | instskip(SKIP_1) | instid1(VALU_DEP_2)
	v_add_f64_e32 v[150:151], v[230:231], v[150:151]
	v_fma_f64 v[230:231], v[28:29], s[16:17], -v[140:141]
	v_add_f64_e32 v[50:51], v[50:51], v[150:151]
	v_mul_f64_e32 v[150:151], s[36:37], v[218:219]
	s_delay_alu instid0(VALU_DEP_3) | instskip(NEXT) | instid1(VALU_DEP_2)
	v_add_f64_e32 v[146:147], v[230:231], v[146:147]
	v_fma_f64 v[230:231], v[176:177], s[20:21], -v[150:151]
	s_delay_alu instid0(VALU_DEP_1) | instskip(SKIP_1) | instid1(VALU_DEP_1)
	v_add_f64_e32 v[232:233], v[230:231], v[146:147]
	v_mul_f64_e32 v[146:147], s[36:37], v[166:167]
	v_fma_f64 v[230:231], v[226:227], s[20:21], v[146:147]
	s_delay_alu instid0(VALU_DEP_1) | instskip(SKIP_1) | instid1(VALU_DEP_1)
	v_add_f64_e32 v[230:231], v[230:231], v[50:51]
	v_mul_f64_e32 v[50:51], s[22:23], v[38:39]
	v_fma_f64 v[54:55], v[6:7], s[2:3], v[50:51]
	v_fma_f64 v[50:51], v[6:7], s[2:3], -v[50:51]
	s_delay_alu instid0(VALU_DEP_2) | instskip(SKIP_2) | instid1(VALU_DEP_3)
	v_add_f64_e32 v[54:55], v[54:55], v[228:229]
	v_mul_f64_e32 v[228:229], s[38:39], v[178:179]
	v_mul_f64_e32 v[178:179], s[28:29], v[178:179]
	v_add_f64_e32 v[54:55], v[58:59], v[54:55]
	s_delay_alu instid0(VALU_DEP_3) | instskip(SKIP_2) | instid1(VALU_DEP_3)
	v_fma_f64 v[245:246], v[8:9], s[12:13], -v[228:229]
	v_mul_f64_e32 v[58:59], s[34:35], v[218:219]
	v_mul_f64_e32 v[218:219], s[22:23], v[218:219]
	v_add_f64_e32 v[224:225], v[245:246], v[224:225]
	v_fma_f64 v[245:246], v[12:13], s[0:1], -v[76:77]
	s_delay_alu instid0(VALU_DEP_1) | instskip(SKIP_2) | instid1(VALU_DEP_2)
	v_add_f64_e32 v[224:225], v[245:246], v[224:225]
	v_fma_f64 v[245:246], v[14:15], s[0:1], v[46:47]
	v_fma_f64 v[46:47], v[14:15], s[0:1], -v[46:47]
	v_add_f64_e32 v[54:55], v[245:246], v[54:55]
	v_fma_f64 v[245:246], v[20:21], s[18:19], -v[44:45]
	v_fma_f64 v[44:45], v[20:21], s[18:19], v[44:45]
	s_delay_alu instid0(VALU_DEP_2) | instskip(SKIP_2) | instid1(VALU_DEP_2)
	v_add_f64_e32 v[224:225], v[245:246], v[224:225]
	v_fma_f64 v[245:246], v[22:23], s[18:19], v[42:43]
	v_fma_f64 v[42:43], v[22:23], s[18:19], -v[42:43]
	v_add_f64_e32 v[54:55], v[245:246], v[54:55]
	v_fma_f64 v[245:246], v[24:25], s[20:21], -v[40:41]
	v_fma_f64 v[40:41], v[24:25], s[20:21], v[40:41]
	s_delay_alu instid0(VALU_DEP_2) | instskip(SKIP_2) | instid1(VALU_DEP_2)
	v_add_f64_e32 v[224:225], v[245:246], v[224:225]
	v_fma_f64 v[245:246], v[26:27], s[20:21], v[30:31]
	v_fma_f64 v[30:31], v[26:27], s[20:21], -v[30:31]
	v_add_f64_e32 v[54:55], v[245:246], v[54:55]
	v_fma_f64 v[245:246], v[28:29], s[14:15], -v[18:19]
	v_fma_f64 v[18:19], v[28:29], s[14:15], v[18:19]
	s_delay_alu instid0(VALU_DEP_2) | instskip(SKIP_1) | instid1(VALU_DEP_1)
	v_add_f64_e32 v[224:225], v[245:246], v[224:225]
	v_fma_f64 v[245:246], v[174:175], s[14:15], v[82:83]
	v_add_f64_e32 v[54:55], v[245:246], v[54:55]
	v_fma_f64 v[245:246], v[176:177], s[10:11], -v[58:59]
	s_delay_alu instid0(VALU_DEP_1) | instskip(SKIP_2) | instid1(VALU_DEP_2)
	v_add_f64_e32 v[247:248], v[245:246], v[224:225]
	v_mul_f64_e32 v[224:225], s[34:35], v[166:167]
	v_mul_f64_e32 v[166:167], s[22:23], v[166:167]
	v_fma_f64 v[245:246], v[226:227], s[10:11], v[224:225]
	s_delay_alu instid0(VALU_DEP_1) | instskip(SKIP_1) | instid1(VALU_DEP_1)
	v_add_f64_e32 v[245:246], v[245:246], v[54:55]
	v_mul_f64_e32 v[54:55], s[26:27], v[36:37]
	v_fma_f64 v[66:67], v[4:5], s[12:13], -v[54:55]
	v_fma_f64 v[54:55], v[4:5], s[12:13], v[54:55]
	s_delay_alu instid0(VALU_DEP_2) | instskip(NEXT) | instid1(VALU_DEP_1)
	v_add_f64_e32 v[66:67], v[66:67], v[220:221]
	v_add_f64_e32 v[66:67], v[184:185], v[66:67]
	v_mul_f64_e32 v[184:185], s[50:51], v[198:199]
	v_mul_f64_e32 v[198:199], s[28:29], v[198:199]
	s_delay_alu instid0(VALU_DEP_3) | instskip(NEXT) | instid1(VALU_DEP_3)
	v_add_f64_e32 v[66:67], v[190:191], v[66:67]
	v_fma_f64 v[220:221], v[10:11], s[0:1], v[184:185]
	v_mul_f64_e32 v[190:191], s[36:37], v[202:203]
	v_mul_f64_e32 v[202:203], s[44:45], v[202:203]
	s_delay_alu instid0(VALU_DEP_3) | instskip(NEXT) | instid1(VALU_DEP_3)
	v_add_f64_e32 v[186:187], v[220:221], v[186:187]
	v_fma_f64 v[220:221], v[14:15], s[20:21], v[190:191]
	s_delay_alu instid0(VALU_DEP_1) | instskip(SKIP_1) | instid1(VALU_DEP_1)
	v_add_f64_e32 v[186:187], v[220:221], v[186:187]
	v_fma_f64 v[220:221], v[20:21], s[16:17], -v[126:127]
	v_add_f64_e32 v[66:67], v[220:221], v[66:67]
	v_fma_f64 v[220:221], v[22:23], s[16:17], v[128:129]
	s_delay_alu instid0(VALU_DEP_1) | instskip(SKIP_1) | instid1(VALU_DEP_1)
	v_add_f64_e32 v[186:187], v[220:221], v[186:187]
	v_fma_f64 v[220:221], v[24:25], s[10:11], -v[130:131]
	;; [unrolled: 5-line block ×4, first 2 shown]
	v_add_f64_e32 v[222:223], v[220:221], v[66:67]
	v_fma_f64 v[66:67], v[226:227], s[18:19], v[16:17]
	s_delay_alu instid0(VALU_DEP_1)
	v_add_f64_e32 v[220:221], v[66:67], v[186:187]
	scratch_load_b64 v[66:67], off, off offset:376 th:TH_LOAD_LU ; 8-byte Folded Reload
	s_wait_loadcnt 0x0
	v_add_f64_e32 v[64:65], v[66:67], v[64:65]
	s_clause 0x1
	scratch_load_b64 v[66:67], off, off offset:384 th:TH_LOAD_LU
	scratch_load_b64 v[186:187], off, off offset:456 th:TH_LOAD_LU
	s_wait_loadcnt 0x0
	v_add_f64_e32 v[66:67], v[66:67], v[186:187]
	scratch_load_b64 v[186:187], off, off offset:472 th:TH_LOAD_LU ; 8-byte Folded Reload
	s_wait_loadcnt 0x0
	v_add_f64_e32 v[64:65], v[64:65], v[186:187]
	scratch_load_b64 v[186:187], off, off offset:464 th:TH_LOAD_LU ; 8-byte Folded Reload
	s_wait_loadcnt 0x0
	v_add_f64_e32 v[66:67], v[66:67], v[186:187]
	scratch_load_b64 v[186:187], off, off offset:504 th:TH_LOAD_LU ; 8-byte Folded Reload
	s_wait_loadcnt 0x0
	v_add_f64_e32 v[64:65], v[64:65], v[186:187]
	scratch_load_b64 v[186:187], off, off offset:496 th:TH_LOAD_LU ; 8-byte Folded Reload
	s_wait_loadcnt 0x0
	v_add_f64_e32 v[66:67], v[66:67], v[186:187]
	scratch_load_b64 v[186:187], off, off offset:536 th:TH_LOAD_LU ; 8-byte Folded Reload
	s_wait_loadcnt 0x0
	v_add_f64_e32 v[64:65], v[64:65], v[186:187]
	scratch_load_b64 v[186:187], off, off offset:528 th:TH_LOAD_LU ; 8-byte Folded Reload
	s_wait_loadcnt 0x0
	v_add_f64_e32 v[66:67], v[66:67], v[186:187]
	scratch_load_b64 v[186:187], off, off offset:568 th:TH_LOAD_LU ; 8-byte Folded Reload
	s_wait_loadcnt 0x0
	v_add_f64_e32 v[64:65], v[64:65], v[186:187]
	scratch_load_b64 v[186:187], off, off offset:560 th:TH_LOAD_LU ; 8-byte Folded Reload
	s_wait_loadcnt 0x0
	v_add_f64_e32 v[66:67], v[66:67], v[186:187]
	scratch_load_b64 v[186:187], off, off offset:592 th:TH_LOAD_LU ; 8-byte Folded Reload
	s_wait_loadcnt 0x0
	v_add_f64_e32 v[64:65], v[64:65], v[186:187]
	scratch_load_b64 v[186:187], off, off offset:600 th:TH_LOAD_LU ; 8-byte Folded Reload
	v_add_f64_e32 v[64:65], v[64:65], v[34:35]
	s_wait_loadcnt 0x0
	v_add_f64_e32 v[66:67], v[66:67], v[186:187]
	v_mul_f64_e32 v[186:187], s[42:43], v[38:39]
	scratch_load_b64 v[38:39], off, off offset:336 th:TH_LOAD_LU ; 8-byte Folded Reload
	v_add_f64_e32 v[66:67], v[66:67], v[32:33]
	scratch_load_b64 v[32:33], off, off offset:728 th:TH_LOAD_LU ; 8-byte Folded Reload
	v_add_f64_e32 v[66:67], v[66:67], v[72:73]
	s_wait_loadcnt 0x0
	v_add_f64_e32 v[64:65], v[64:65], v[32:33]
	scratch_load_b64 v[32:33], off, off offset:584 th:TH_LOAD_LU ; 8-byte Folded Reload
	s_wait_loadcnt 0x0
	v_add_f64_e32 v[64:65], v[64:65], v[32:33]
	scratch_load_b64 v[32:33], off, off offset:576 th:TH_LOAD_LU ; 8-byte Folded Reload
	;; [unrolled: 3-line block ×15, first 2 shown]
	v_mul_f64_e32 v[72:73], s[42:43], v[36:37]
	s_delay_alu instid0(VALU_DEP_1) | instskip(SKIP_1) | instid1(VALU_DEP_1)
	v_fma_f64 v[36:37], v[4:5], s[10:11], -v[72:73]
	s_wait_loadcnt 0x0
	v_add_f64_e32 v[34:35], v[36:37], v[32:33]
	scratch_load_b64 v[32:33], off, off offset:360 th:TH_LOAD_LU ; 8-byte Folded Reload
	v_fma_f64 v[36:37], v[6:7], s[10:11], v[186:187]
	s_wait_loadcnt 0x0
	s_delay_alu instid0(VALU_DEP_1) | instskip(SKIP_1) | instid1(VALU_DEP_1)
	v_add_f64_e32 v[32:33], v[36:37], v[32:33]
	v_fma_f64 v[36:37], v[8:9], s[18:19], -v[178:179]
	v_add_f64_e32 v[34:35], v[36:37], v[34:35]
	v_fma_f64 v[36:37], v[10:11], s[18:19], v[198:199]
	s_delay_alu instid0(VALU_DEP_1) | instskip(SKIP_1) | instid1(VALU_DEP_1)
	v_add_f64_e32 v[32:33], v[36:37], v[32:33]
	v_fma_f64 v[36:37], v[12:13], s[16:17], -v[200:201]
	v_add_f64_e32 v[34:35], v[36:37], v[34:35]
	v_fma_f64 v[36:37], v[14:15], s[16:17], v[202:203]
	;; [unrolled: 5-line block ×7, first 2 shown]
	scratch_load_b64 v[78:79], off, off offset:328 th:TH_LOAD_LU ; 8-byte Folded Reload
	v_add_f64_e32 v[36:37], v[68:69], v[36:37]
	v_fma_f64 v[68:69], v[10:11], s[20:21], v[164:165]
	s_wait_loadcnt 0x0
	v_add_f64_e32 v[38:39], v[38:39], v[78:79]
	s_delay_alu instid0(VALU_DEP_1) | instskip(SKIP_1) | instid1(VALU_DEP_1)
	v_add_f64_e32 v[38:39], v[68:69], v[38:39]
	v_fma_f64 v[68:69], v[12:13], s[10:11], -v[74:75]
	v_add_f64_e32 v[36:37], v[68:69], v[36:37]
	v_fma_f64 v[68:69], v[14:15], s[10:11], v[234:235]
	s_delay_alu instid0(VALU_DEP_1) | instskip(SKIP_1) | instid1(VALU_DEP_1)
	v_add_f64_e32 v[38:39], v[68:69], v[38:39]
	v_fma_f64 v[68:69], v[20:21], s[14:15], -v[249:250]
	v_add_f64_e32 v[36:37], v[68:69], v[36:37]
	v_fma_f64 v[68:69], v[22:23], s[14:15], v[251:252]
	s_delay_alu instid0(VALU_DEP_1) | instskip(SKIP_1) | instid1(VALU_DEP_1)
	v_add_f64_e32 v[38:39], v[68:69], v[38:39]
	v_fma_f64 v[68:69], v[24:25], s[18:19], -v[253:254]
	v_add_f64_e32 v[36:37], v[68:69], v[36:37]
	v_fma_f64 v[68:69], v[26:27], s[18:19], v[110:111]
	s_delay_alu instid0(VALU_DEP_1) | instskip(SKIP_1) | instid1(VALU_DEP_2)
	v_add_f64_e32 v[38:39], v[68:69], v[38:39]
	v_fma_f64 v[68:69], v[28:29], s[12:13], -v[70:71]
	v_add_f64_e32 v[62:63], v[62:63], v[38:39]
	s_delay_alu instid0(VALU_DEP_2)
	v_add_f64_e32 v[36:37], v[68:69], v[36:37]
	v_fma_f64 v[38:39], v[176:177], s[16:17], -v[60:61]
	scratch_load_b64 v[60:61], off, off offset:320 th:TH_LOAD_LU ; 8-byte Folded Reload
	v_fma_f64 v[68:69], v[226:227], s[2:3], -v[166:167]
	v_add_f64_e32 v[38:39], v[38:39], v[36:37]
	v_add_f64_e32 v[36:37], v[56:57], v[62:63]
	scratch_load_b64 v[62:63], off, off offset:312 th:TH_LOAD_LU ; 8-byte Folded Reload
	v_fma_f64 v[56:57], v[4:5], s[10:11], v[72:73]
	s_wait_loadcnt 0x1
	s_delay_alu instid0(VALU_DEP_1) | instskip(SKIP_2) | instid1(VALU_DEP_1)
	v_add_f64_e32 v[56:57], v[56:57], v[60:61]
	v_fma_f64 v[60:61], v[6:7], s[10:11], -v[186:187]
	s_wait_loadcnt 0x0
	v_add_f64_e32 v[60:61], v[60:61], v[62:63]
	v_fma_f64 v[62:63], v[8:9], s[18:19], v[178:179]
	s_delay_alu instid0(VALU_DEP_1) | instskip(SKIP_1) | instid1(VALU_DEP_1)
	v_add_f64_e32 v[56:57], v[62:63], v[56:57]
	v_fma_f64 v[62:63], v[10:11], s[18:19], -v[198:199]
	v_add_f64_e32 v[60:61], v[62:63], v[60:61]
	v_fma_f64 v[62:63], v[12:13], s[16:17], v[200:201]
	s_delay_alu instid0(VALU_DEP_1) | instskip(SKIP_1) | instid1(VALU_DEP_1)
	v_add_f64_e32 v[56:57], v[62:63], v[56:57]
	v_fma_f64 v[62:63], v[14:15], s[16:17], -v[202:203]
	;; [unrolled: 5-line block ×5, first 2 shown]
	v_add_f64_e32 v[60:61], v[62:63], v[60:61]
	v_fma_f64 v[62:63], v[176:177], s[2:3], v[218:219]
	s_delay_alu instid0(VALU_DEP_2) | instskip(NEXT) | instid1(VALU_DEP_2)
	v_add_f64_e32 v[68:69], v[68:69], v[60:61]
	v_add_f64_e32 v[70:71], v[62:63], v[56:57]
	scratch_load_b64 v[56:57], off, off offset:280 th:TH_LOAD_LU ; 8-byte Folded Reload
	v_fma_f64 v[60:61], v[226:227], s[18:19], -v[16:17]
	v_fma_f64 v[16:17], v[174:175], s[14:15], -v[82:83]
	s_wait_loadcnt 0x0
	v_add_f64_e32 v[54:55], v[54:55], v[56:57]
	v_fma_f64 v[56:57], v[8:9], s[0:1], v[84:85]
	s_delay_alu instid0(VALU_DEP_1) | instskip(SKIP_1) | instid1(VALU_DEP_1)
	v_add_f64_e32 v[54:55], v[56:57], v[54:55]
	v_fma_f64 v[56:57], v[12:13], s[20:21], v[124:125]
	v_add_f64_e32 v[54:55], v[56:57], v[54:55]
	v_fma_f64 v[56:57], v[20:21], s[16:17], v[126:127]
	s_delay_alu instid0(VALU_DEP_1) | instskip(SKIP_1) | instid1(VALU_DEP_1)
	v_add_f64_e32 v[54:55], v[56:57], v[54:55]
	v_fma_f64 v[56:57], v[24:25], s[10:11], v[130:131]
	v_add_f64_e32 v[54:55], v[56:57], v[54:55]
	scratch_load_b64 v[56:57], off, off offset:264 th:TH_LOAD_LU ; 8-byte Folded Reload
	s_wait_loadcnt 0x0
	v_add_f64_e32 v[0:1], v[0:1], v[56:57]
	v_fma_f64 v[56:57], v[10:11], s[0:1], -v[184:185]
	s_delay_alu instid0(VALU_DEP_1) | instskip(SKIP_1) | instid1(VALU_DEP_1)
	v_add_f64_e32 v[0:1], v[56:57], v[0:1]
	v_fma_f64 v[56:57], v[14:15], s[20:21], -v[190:191]
	v_add_f64_e32 v[0:1], v[56:57], v[0:1]
	v_fma_f64 v[56:57], v[22:23], s[16:17], -v[128:129]
	s_delay_alu instid0(VALU_DEP_1) | instskip(SKIP_1) | instid1(VALU_DEP_1)
	v_add_f64_e32 v[0:1], v[56:57], v[0:1]
	v_fma_f64 v[56:57], v[26:27], s[10:11], -v[116:117]
	v_add_f64_e32 v[0:1], v[56:57], v[0:1]
	v_fma_f64 v[56:57], v[28:29], s[2:3], v[108:109]
	s_delay_alu instid0(VALU_DEP_1) | instskip(SKIP_1) | instid1(VALU_DEP_1)
	v_add_f64_e32 v[54:55], v[56:57], v[54:55]
	v_fma_f64 v[56:57], v[174:175], s[2:3], -v[80:81]
	v_add_f64_e32 v[0:1], v[56:57], v[0:1]
	v_fma_f64 v[56:57], v[176:177], s[18:19], v[2:3]
	scratch_load_b64 v[2:3], off, off offset:296 th:TH_LOAD_LU ; 8-byte Folded Reload
	v_add_f64_e32 v[72:73], v[60:61], v[0:1]
	v_fma_f64 v[0:1], v[4:5], s[2:3], v[52:53]
	v_fma_f64 v[52:53], v[8:9], s[12:13], v[228:229]
	v_add_f64_e32 v[74:75], v[56:57], v[54:55]
	s_wait_loadcnt 0x0
	s_delay_alu instid0(VALU_DEP_3)
	v_add_f64_e32 v[0:1], v[0:1], v[2:3]
	scratch_load_b64 v[2:3], off, off offset:304 th:TH_LOAD_LU ; 8-byte Folded Reload
	v_add_f64_e32 v[0:1], v[52:53], v[0:1]
	s_wait_loadcnt 0x0
	v_add_f64_e32 v[50:51], v[50:51], v[2:3]
	v_fma_f64 v[2:3], v[176:177], s[10:11], v[58:59]
	s_delay_alu instid0(VALU_DEP_2) | instskip(SKIP_1) | instid1(VALU_DEP_2)
	v_add_f64_e32 v[48:49], v[48:49], v[50:51]
	v_fma_f64 v[50:51], v[12:13], s[0:1], v[76:77]
	v_add_f64_e32 v[46:47], v[46:47], v[48:49]
	s_delay_alu instid0(VALU_DEP_2) | instskip(NEXT) | instid1(VALU_DEP_2)
	v_add_f64_e32 v[0:1], v[50:51], v[0:1]
	v_add_f64_e32 v[42:43], v[42:43], v[46:47]
	s_delay_alu instid0(VALU_DEP_2) | instskip(NEXT) | instid1(VALU_DEP_2)
	v_add_f64_e32 v[0:1], v[44:45], v[0:1]
	;; [unrolled: 3-line block ×3, first 2 shown]
	v_add_f64_e32 v[16:17], v[16:17], v[30:31]
	s_delay_alu instid0(VALU_DEP_2) | instskip(SKIP_2) | instid1(VALU_DEP_3)
	v_add_f64_e32 v[0:1], v[18:19], v[0:1]
	v_fma_f64 v[18:19], v[226:227], s[10:11], -v[224:225]
	v_fma_f64 v[30:31], v[226:227], s[20:21], -v[146:147]
	v_add_f64_e32 v[78:79], v[2:3], v[0:1]
	scratch_load_b64 v[2:3], off, off offset:248 th:TH_LOAD_LU ; 8-byte Folded Reload
	v_add_f64_e32 v[76:77], v[18:19], v[16:17]
	scratch_load_b64 v[16:17], off, off offset:256 th:TH_LOAD_LU ; 8-byte Folded Reload
	v_fma_f64 v[0:1], v[4:5], s[14:15], v[192:193]
	s_wait_loadcnt 0x1
	s_delay_alu instid0(VALU_DEP_1) | instskip(SKIP_2) | instid1(VALU_DEP_1)
	v_add_f64_e32 v[0:1], v[0:1], v[2:3]
	v_fma_f64 v[2:3], v[6:7], s[14:15], -v[142:143]
	s_wait_loadcnt 0x0
	v_add_f64_e32 v[2:3], v[2:3], v[16:17]
	v_fma_f64 v[16:17], v[8:9], s[2:3], v[144:145]
	v_dual_mov_b32 v147, v139 :: v_dual_mov_b32 v146, v138
	v_dual_mov_b32 v145, v137 :: v_dual_mov_b32 v144, v136
	scratch_load_b128 v[136:139], off, off offset:216 ; 16-byte Folded Reload
	v_add_f64_e32 v[0:1], v[16:17], v[0:1]
	v_fma_f64 v[16:17], v[10:11], s[2:3], -v[148:149]
	s_delay_alu instid0(VALU_DEP_1) | instskip(SKIP_1) | instid1(VALU_DEP_1)
	v_add_f64_e32 v[2:3], v[16:17], v[2:3]
	v_fma_f64 v[16:17], v[12:13], s[12:13], v[152:153]
	v_add_f64_e32 v[0:1], v[16:17], v[0:1]
	v_fma_f64 v[16:17], v[14:15], s[12:13], -v[154:155]
	v_dual_mov_b32 v152, v194 :: v_dual_mov_b32 v153, v195
	v_dual_mov_b32 v154, v196 :: v_dual_mov_b32 v155, v197
	s_delay_alu instid0(VALU_DEP_3) | instskip(SKIP_1) | instid1(VALU_DEP_1)
	v_add_f64_e32 v[2:3], v[16:17], v[2:3]
	v_fma_f64 v[16:17], v[20:21], s[10:11], v[156:157]
	v_add_f64_e32 v[0:1], v[16:17], v[0:1]
	v_fma_f64 v[16:17], v[22:23], s[10:11], -v[158:159]
	v_dual_mov_b32 v159, v107 :: v_dual_mov_b32 v158, v106
	v_dual_mov_b32 v157, v105 :: v_dual_mov_b32 v156, v104
	v_dual_mov_b32 v107, v89 :: v_dual_mov_b32 v106, v88
	v_dual_mov_b32 v105, v87 :: v_dual_mov_b32 v104, v86
	v_dual_mov_b32 v88, v180 :: v_dual_mov_b32 v89, v181
	v_dual_mov_b32 v90, v182 :: v_dual_mov_b32 v91, v183
	v_add_f64_e32 v[2:3], v[16:17], v[2:3]
	v_fma_f64 v[16:17], v[24:25], s[0:1], v[160:161]
	s_delay_alu instid0(VALU_DEP_1) | instskip(SKIP_1) | instid1(VALU_DEP_1)
	v_add_f64_e32 v[0:1], v[16:17], v[0:1]
	v_fma_f64 v[16:17], v[26:27], s[0:1], -v[162:163]
	v_add_f64_e32 v[2:3], v[16:17], v[2:3]
	v_fma_f64 v[16:17], v[28:29], s[16:17], v[140:141]
	v_dual_mov_b32 v140, v168 :: v_dual_mov_b32 v141, v169
	v_dual_mov_b32 v142, v170 :: v_dual_mov_b32 v143, v171
	s_delay_alu instid0(VALU_DEP_3) | instskip(SKIP_1) | instid1(VALU_DEP_1)
	v_add_f64_e32 v[0:1], v[16:17], v[0:1]
	v_fma_f64 v[16:17], v[174:175], s[16:17], -v[118:119]
	v_add_f64_e32 v[2:3], v[16:17], v[2:3]
	v_fma_f64 v[16:17], v[176:177], s[20:21], v[150:151]
	v_dual_mov_b32 v151, v135 :: v_dual_mov_b32 v150, v134
	v_dual_mov_b32 v149, v133 :: v_dual_mov_b32 v148, v132
	s_delay_alu instid0(VALU_DEP_3)
	v_add_f64_e32 v[18:19], v[16:17], v[0:1]
	scratch_load_b64 v[0:1], off, off offset:640 th:TH_LOAD_LU ; 8-byte Folded Reload
	v_add_f64_e32 v[16:17], v[30:31], v[2:3]
	scratch_load_b64 v[2:3], off, off offset:648 th:TH_LOAD_LU ; 8-byte Folded Reload
	s_wait_loadcnt 0x1
	v_fma_f64 v[0:1], v[4:5], s[18:19], v[0:1]
	scratch_load_b64 v[4:5], off, off offset:656 th:TH_LOAD_LU ; 8-byte Folded Reload
	s_wait_loadcnt 0x0
	v_fma_f64 v[4:5], v[8:9], s[16:17], v[4:5]
	scratch_load_b64 v[8:9], off, off offset:240 th:TH_LOAD_LU ; 8-byte Folded Reload
	v_fma_f64 v[2:3], v[6:7], s[18:19], -v[2:3]
	scratch_load_b64 v[6:7], off, off offset:232 th:TH_LOAD_LU ; 8-byte Folded Reload
	s_wait_loadcnt 0x1
	v_add_f64_e32 v[2:3], v[2:3], v[8:9]
	scratch_load_b64 v[8:9], off, off offset:672 th:TH_LOAD_LU ; 8-byte Folded Reload
	s_wait_loadcnt 0x1
	v_add_f64_e32 v[0:1], v[0:1], v[6:7]
	scratch_load_b64 v[6:7], off, off offset:664 th:TH_LOAD_LU ; 8-byte Folded Reload
	v_add_f64_e32 v[0:1], v[4:5], v[0:1]
	scratch_load_b64 v[4:5], off, off offset:680 th:TH_LOAD_LU ; 8-byte Folded Reload
	s_wait_loadcnt 0x2
	v_fma_f64 v[8:9], v[12:13], s[14:15], v[8:9]
	s_wait_loadcnt 0x1
	v_fma_f64 v[6:7], v[10:11], s[16:17], -v[6:7]
	s_delay_alu instid0(VALU_DEP_2)
	v_add_f64_e32 v[0:1], v[8:9], v[0:1]
	scratch_load_b64 v[8:9], off, off offset:696 th:TH_LOAD_LU ; 8-byte Folded Reload
	s_wait_loadcnt 0x1
	v_fma_f64 v[4:5], v[14:15], s[14:15], -v[4:5]
	v_add_f64_e32 v[2:3], v[6:7], v[2:3]
	scratch_load_b64 v[6:7], off, off offset:688 th:TH_LOAD_LU ; 8-byte Folded Reload
	v_add_f64_e32 v[2:3], v[4:5], v[2:3]
	scratch_load_b64 v[4:5], off, off offset:704 th:TH_LOAD_LU ; 8-byte Folded Reload
	s_wait_loadcnt 0x2
	v_fma_f64 v[8:9], v[22:23], s[0:1], -v[8:9]
	s_wait_loadcnt 0x1
	v_fma_f64 v[6:7], v[20:21], s[0:1], v[6:7]
	s_delay_alu instid0(VALU_DEP_2) | instskip(SKIP_3) | instid1(VALU_DEP_4)
	v_add_f64_e32 v[2:3], v[8:9], v[2:3]
	v_fma_f64 v[8:9], v[28:29], s[10:11], v[188:189]
	s_wait_loadcnt 0x0
	v_fma_f64 v[4:5], v[24:25], s[2:3], v[4:5]
	v_add_f64_e32 v[0:1], v[6:7], v[0:1]
	v_fma_f64 v[6:7], v[26:27], s[2:3], -v[212:213]
	s_delay_alu instid0(VALU_DEP_2)
	v_add_f64_e32 v[0:1], v[4:5], v[0:1]
	scratch_load_b64 v[4:5], off, off offset:712 th:TH_LOAD_LU ; 8-byte Folded Reload
	v_add_f64_e32 v[2:3], v[6:7], v[2:3]
	scratch_load_b64 v[6:7], off, off offset:720 th:TH_LOAD_LU ; 8-byte Folded Reload
	v_add_f64_e32 v[0:1], v[8:9], v[0:1]
	v_fma_f64 v[8:9], v[226:227], s[12:13], -v[172:173]
	s_wait_loadcnt 0x1
	v_fma_f64 v[4:5], v[174:175], s[10:11], -v[4:5]
	s_wait_loadcnt 0x0
	v_fma_f64 v[6:7], v[176:177], s[12:13], v[6:7]
	s_delay_alu instid0(VALU_DEP_2) | instskip(NEXT) | instid1(VALU_DEP_2)
	v_add_f64_e32 v[4:5], v[4:5], v[2:3]
	v_add_f64_e32 v[2:3], v[6:7], v[0:1]
	s_delay_alu instid0(VALU_DEP_2)
	v_add_f64_e32 v[0:1], v[8:9], v[4:5]
	s_clause 0x1
	scratch_load_b32 v4, off, off offset:208 th:TH_LOAD_LU
	scratch_load_b32 v5, off, off offset:212 th:TH_LOAD_LU
	s_wait_loadcnt 0x1
	v_and_b32_e32 v4, 0xffff, v4
	s_delay_alu instid0(VALU_DEP_1) | instskip(SKIP_1) | instid1(VALU_DEP_1)
	v_mul_u32_u24_e32 v4, 51, v4
	s_wait_loadcnt 0x0
	v_add_lshl_u32 v4, v4, v5, 4
	ds_store_b128 v4, v[64:67]
	ds_store_b128 v4, v[241:244] offset:48
	ds_store_b128 v4, v[230:233] offset:96
	;; [unrolled: 1-line block ×6, first 2 shown]
	scratch_load_b128 v[5:8], off, off offset:624 th:TH_LOAD_LU ; 16-byte Folded Reload
	s_wait_loadcnt 0x0
	ds_store_b128 v4, v[5:8] offset:336
	scratch_load_b128 v[5:8], off, off offset:544 th:TH_LOAD_LU ; 16-byte Folded Reload
	s_wait_loadcnt 0x0
	ds_store_b128 v4, v[5:8] offset:384
	;; [unrolled: 3-line block ×4, first 2 shown]
	ds_store_b128 v4, v[237:240] offset:528
	ds_store_b128 v4, v[68:71] offset:576
	;; [unrolled: 1-line block ×6, first 2 shown]
.LBB0_21:
	s_or_b32 exec_lo, exec_lo, s33
	global_wb scope:SCOPE_SE
	s_wait_storecnt_dscnt 0x0
	s_barrier_signal -1
	s_barrier_wait -1
	global_inv scope:SCOPE_SE
	ds_load_b128 v[0:3], v255 offset:1632
	ds_load_b128 v[4:7], v255 offset:3264
	;; [unrolled: 1-line block ×12, first 2 shown]
	s_mov_b32 s0, 0x37e14327
	s_mov_b32 s2, 0x36b3c0b5
	;; [unrolled: 1-line block ×9, first 2 shown]
	s_wait_dscnt 0xb
	v_mul_f64_e32 v[40:41], v[90:91], v[2:3]
	v_mul_f64_e32 v[42:43], v[90:91], v[0:1]
	s_wait_dscnt 0xa
	v_mul_f64_e32 v[44:45], v[106:107], v[6:7]
	v_mul_f64_e32 v[46:47], v[106:107], v[4:5]
	;; [unrolled: 3-line block ×9, first 2 shown]
	v_mul_f64_e32 v[84:85], v[122:123], v[34:35]
	v_mul_f64_e32 v[86:87], v[122:123], v[32:33]
	s_mov_b32 s16, 0xb247c609
	s_mov_b32 s15, 0xbff2aaaa
	;; [unrolled: 1-line block ×4, first 2 shown]
	s_wait_alu 0xfffe
	s_mov_b32 s18, s16
	v_fma_f64 v[0:1], v[88:89], v[0:1], v[40:41]
	v_fma_f64 v[2:3], v[88:89], v[2:3], -v[42:43]
	v_fma_f64 v[4:5], v[104:105], v[4:5], v[44:45]
	v_fma_f64 v[6:7], v[104:105], v[6:7], -v[46:47]
	;; [unrolled: 2-line block ×4, first 2 shown]
	s_wait_dscnt 0x1
	v_mul_f64_e32 v[40:41], v[114:115], v[50:51]
	v_mul_f64_e32 v[42:43], v[114:115], v[48:49]
	s_wait_dscnt 0x0
	v_mul_f64_e32 v[44:45], v[122:123], v[54:55]
	v_mul_f64_e32 v[46:47], v[122:123], v[52:53]
	v_fma_f64 v[16:17], v[88:89], v[16:17], v[64:65]
	v_fma_f64 v[18:19], v[88:89], v[18:19], -v[66:67]
	v_fma_f64 v[20:21], v[104:105], v[20:21], v[68:69]
	v_fma_f64 v[22:23], v[104:105], v[22:23], -v[70:71]
	;; [unrolled: 2-line block ×6, first 2 shown]
	v_add_f64_e32 v[56:57], v[0:1], v[8:9]
	v_add_f64_e32 v[58:59], v[2:3], v[10:11]
	;; [unrolled: 1-line block ×4, first 2 shown]
	v_fma_f64 v[40:41], v[112:113], v[48:49], v[40:41]
	v_fma_f64 v[42:43], v[112:113], v[50:51], -v[42:43]
	v_fma_f64 v[44:45], v[120:121], v[52:53], v[44:45]
	v_fma_f64 v[46:47], v[120:121], v[54:55], -v[46:47]
	v_add_f64_e64 v[12:13], v[4:5], -v[12:13]
	v_add_f64_e64 v[14:15], v[6:7], -v[14:15]
	;; [unrolled: 1-line block ×4, first 2 shown]
	v_add_f64_e32 v[48:49], v[16:17], v[24:25]
	v_add_f64_e32 v[50:51], v[18:19], v[26:27]
	;; [unrolled: 1-line block ×4, first 2 shown]
	v_add_f64_e64 v[20:21], v[20:21], -v[28:29]
	v_add_f64_e64 v[22:23], v[22:23], -v[30:31]
	v_add_f64_e32 v[64:65], v[36:37], v[32:33]
	v_add_f64_e32 v[66:67], v[38:39], v[34:35]
	v_add_f64_e64 v[32:33], v[32:33], -v[36:37]
	v_add_f64_e64 v[34:35], v[34:35], -v[38:39]
	;; [unrolled: 1-line block ×4, first 2 shown]
	ds_load_b128 v[0:3], v255
	ds_load_b128 v[4:7], v255 offset:816
	global_wb scope:SCOPE_SE
	s_wait_dscnt 0x0
	s_barrier_signal -1
	s_barrier_wait -1
	global_inv scope:SCOPE_SE
	v_add_f64_e32 v[36:37], v[60:61], v[56:57]
	v_add_f64_e32 v[38:39], v[62:63], v[58:59]
	;; [unrolled: 1-line block ×4, first 2 shown]
	v_add_f64_e64 v[40:41], v[44:45], -v[40:41]
	v_add_f64_e64 v[42:43], v[46:47], -v[42:43]
	;; [unrolled: 1-line block ×4, first 2 shown]
	v_add_f64_e32 v[24:25], v[52:53], v[48:49]
	v_add_f64_e32 v[26:27], v[54:55], v[50:51]
	v_add_f64_e64 v[44:45], v[56:57], -v[64:65]
	v_add_f64_e64 v[46:47], v[58:59], -v[66:67]
	;; [unrolled: 1-line block ×10, first 2 shown]
	v_add_f64_e32 v[12:13], v[32:33], v[12:13]
	v_add_f64_e32 v[14:15], v[34:35], v[14:15]
	v_add_f64_e64 v[32:33], v[8:9], -v[32:33]
	v_add_f64_e64 v[34:35], v[10:11], -v[34:35]
	v_add_f64_e32 v[36:37], v[64:65], v[36:37]
	v_add_f64_e32 v[38:39], v[66:67], v[38:39]
	v_add_f64_e64 v[64:65], v[48:49], -v[28:29]
	v_add_f64_e64 v[66:67], v[50:51], -v[30:31]
	;; [unrolled: 1-line block ×4, first 2 shown]
	v_add_f64_e32 v[20:21], v[40:41], v[20:21]
	v_add_f64_e32 v[22:23], v[42:43], v[22:23]
	v_mul_f64_e32 v[88:89], s[12:13], v[76:77]
	v_mul_f64_e32 v[90:91], s[12:13], v[78:79]
	v_add_f64_e32 v[24:25], v[28:29], v[24:25]
	v_add_f64_e32 v[26:27], v[30:31], v[26:27]
	v_add_f64_e64 v[28:29], v[28:29], -v[52:53]
	v_add_f64_e64 v[30:31], v[30:31], -v[54:55]
	v_mul_f64_e32 v[44:45], s[0:1], v[44:45]
	v_mul_f64_e32 v[46:47], s[0:1], v[46:47]
	;; [unrolled: 1-line block ×6, first 2 shown]
	v_add_f64_e64 v[40:41], v[16:17], -v[40:41]
	v_add_f64_e64 v[42:43], v[18:19], -v[42:43]
	v_mul_f64_e32 v[92:93], s[12:13], v[84:85]
	v_mul_f64_e32 v[94:95], s[12:13], v[86:87]
	v_add_f64_e64 v[48:49], v[52:53], -v[48:49]
	v_add_f64_e64 v[50:51], v[54:55], -v[50:51]
	v_add_f64_e32 v[8:9], v[12:13], v[8:9]
	v_add_f64_e32 v[10:11], v[14:15], v[10:11]
	;; [unrolled: 1-line block ×4, first 2 shown]
	v_mul_f64_e32 v[64:65], s[0:1], v[64:65]
	v_mul_f64_e32 v[66:67], s[0:1], v[66:67]
	;; [unrolled: 1-line block ×4, first 2 shown]
	s_mov_b32 s0, 0x5476071b
	s_mov_b32 s1, 0x3fe77f67
	;; [unrolled: 1-line block ×3, first 2 shown]
	s_wait_alu 0xfffe
	s_mov_b32 s10, s0
	v_add_f64_e32 v[4:5], v[4:5], v[24:25]
	v_add_f64_e32 v[6:7], v[6:7], v[26:27]
	v_mul_f64_e32 v[52:53], s[2:3], v[28:29]
	v_mul_f64_e32 v[54:55], s[2:3], v[30:31]
	v_add_f64_e32 v[12:13], v[20:21], v[16:17]
	v_add_f64_e32 v[14:15], v[22:23], v[18:19]
	v_fma_f64 v[16:17], v[68:69], s[2:3], v[44:45]
	v_fma_f64 v[18:19], v[70:71], s[2:3], v[46:47]
	v_fma_f64 v[20:21], v[56:57], s[0:1], -v[60:61]
	v_fma_f64 v[22:23], v[58:59], s[0:1], -v[62:63]
	v_fma_f64 v[60:61], v[32:33], s[16:17], v[72:73]
	v_fma_f64 v[62:63], v[34:35], s[16:17], v[74:75]
	v_fma_f64 v[68:69], v[76:77], s[12:13], -v[72:73]
	v_fma_f64 v[70:71], v[78:79], s[12:13], -v[74:75]
	;; [unrolled: 1-line block ×4, first 2 shown]
	s_wait_alu 0xfffe
	v_fma_f64 v[44:45], v[56:57], s[10:11], -v[44:45]
	v_fma_f64 v[46:47], v[58:59], s[10:11], -v[46:47]
	v_fma_f64 v[36:37], v[36:37], s[14:15], v[0:1]
	v_fma_f64 v[38:39], v[38:39], s[14:15], v[2:3]
	;; [unrolled: 1-line block ×6, first 2 shown]
	v_fma_f64 v[72:73], v[84:85], s[12:13], -v[80:81]
	v_fma_f64 v[74:75], v[86:87], s[12:13], -v[82:83]
	;; [unrolled: 1-line block ×4, first 2 shown]
	v_fma_f64 v[24:25], v[24:25], s[14:15], v[4:5]
	v_fma_f64 v[26:27], v[26:27], s[14:15], v[6:7]
	v_fma_f64 v[64:65], v[48:49], s[10:11], -v[64:65]
	v_fma_f64 v[66:67], v[50:51], s[10:11], -v[66:67]
	;; [unrolled: 1-line block ×4, first 2 shown]
	s_mov_b32 s0, 0x37c3f68c
	s_mov_b32 s1, 0xbfdc38aa
	s_wait_alu 0xfffe
	v_fma_f64 v[52:53], v[8:9], s[0:1], v[60:61]
	v_fma_f64 v[54:55], v[10:11], s[0:1], v[62:63]
	;; [unrolled: 1-line block ×6, first 2 shown]
	v_add_f64_e32 v[68:69], v[16:17], v[36:37]
	v_add_f64_e32 v[70:71], v[18:19], v[38:39]
	;; [unrolled: 1-line block ×6, first 2 shown]
	v_fma_f64 v[76:77], v[12:13], s[0:1], v[56:57]
	v_fma_f64 v[78:79], v[14:15], s[0:1], v[58:59]
	;; [unrolled: 1-line block ×6, first 2 shown]
	v_add_f64_e32 v[72:73], v[28:29], v[24:25]
	v_add_f64_e32 v[74:75], v[30:31], v[26:27]
	;; [unrolled: 1-line block ×6, first 2 shown]
	s_mul_u64 s[0:1], s[4:5], 0xee
	s_wait_alu 0xfffe
	s_lshl_b64 s[2:3], s[0:1], 4
	v_add_f64_e32 v[8:9], v[54:55], v[68:69]
	v_add_f64_e64 v[10:11], v[70:71], -v[52:53]
	v_add_f64_e32 v[12:13], v[34:35], v[44:45]
	v_add_f64_e64 v[14:15], v[46:47], -v[32:33]
	v_add_f64_e64 v[16:17], v[20:21], -v[62:63]
	v_add_f64_e32 v[18:19], v[60:61], v[22:23]
	v_add_f64_e32 v[20:21], v[62:63], v[20:21]
	v_add_f64_e64 v[22:23], v[22:23], -v[60:61]
	v_add_f64_e64 v[24:25], v[44:45], -v[34:35]
	v_add_f64_e32 v[26:27], v[32:33], v[46:47]
	v_add_f64_e64 v[28:29], v[68:69], -v[54:55]
	v_add_f64_e32 v[30:31], v[52:53], v[70:71]
	v_add_f64_e32 v[32:33], v[78:79], v[72:73]
	v_add_f64_e64 v[34:35], v[74:75], -v[76:77]
	v_add_f64_e32 v[36:37], v[42:43], v[64:65]
	v_add_f64_e64 v[38:39], v[66:67], -v[40:41]
	v_add_f64_e64 v[48:49], v[80:81], -v[58:59]
	v_add_f64_e32 v[50:51], v[56:57], v[82:83]
	v_add_f64_e32 v[52:53], v[58:59], v[80:81]
	v_add_f64_e64 v[54:55], v[82:83], -v[56:57]
	v_add_f64_e64 v[56:57], v[64:65], -v[42:43]
	v_add_f64_e32 v[58:59], v[40:41], v[66:67]
	v_add_f64_e64 v[60:61], v[72:73], -v[78:79]
	v_add_f64_e32 v[62:63], v[76:77], v[74:75]
	ds_store_b128 v255, v[0:3]
	ds_store_b128 v255, v[8:11] offset:816
	ds_store_b128 v255, v[12:15] offset:1632
	;; [unrolled: 1-line block ×13, first 2 shown]
	global_wb scope:SCOPE_SE
	s_wait_dscnt 0x0
	s_barrier_signal -1
	s_barrier_wait -1
	global_inv scope:SCOPE_SE
	ds_load_b128 v[0:3], v255 offset:5712
	ds_load_b128 v[4:7], v255 offset:6528
	;; [unrolled: 1-line block ×8, first 2 shown]
	s_wait_dscnt 0x7
	v_mul_f64_e32 v[32:33], v[102:103], v[2:3]
	s_wait_dscnt 0x6
	v_mul_f64_e32 v[36:37], v[138:139], v[6:7]
	;; [unrolled: 2-line block ×3, first 2 shown]
	v_mul_f64_e32 v[34:35], v[102:103], v[0:1]
	v_mul_f64_e32 v[38:39], v[138:139], v[4:5]
	v_mul_f64_e32 v[42:43], v[142:143], v[8:9]
	s_wait_dscnt 0x4
	v_mul_f64_e32 v[44:45], v[146:147], v[14:15]
	v_mul_f64_e32 v[46:47], v[146:147], v[12:13]
	s_wait_dscnt 0x3
	v_mul_f64_e32 v[48:49], v[154:155], v[18:19]
	v_mul_f64_e32 v[50:51], v[154:155], v[16:17]
	s_wait_dscnt 0x2
	v_mul_f64_e32 v[52:53], v[150:151], v[22:23]
	v_mul_f64_e32 v[54:55], v[150:151], v[20:21]
	s_wait_dscnt 0x1
	v_mul_f64_e32 v[56:57], v[158:159], v[26:27]
	v_mul_f64_e32 v[58:59], v[158:159], v[24:25]
	v_fma_f64 v[32:33], v[100:101], v[0:1], v[32:33]
	v_fma_f64 v[36:37], v[136:137], v[4:5], v[36:37]
	;; [unrolled: 1-line block ×3, first 2 shown]
	v_fma_f64 v[34:35], v[100:101], v[2:3], -v[34:35]
	v_fma_f64 v[38:39], v[136:137], v[6:7], -v[38:39]
	;; [unrolled: 1-line block ×3, first 2 shown]
	v_fma_f64 v[44:45], v[144:145], v[12:13], v[44:45]
	v_fma_f64 v[46:47], v[144:145], v[14:15], -v[46:47]
	v_fma_f64 v[60:61], v[152:153], v[16:17], v[48:49]
	v_fma_f64 v[62:63], v[152:153], v[18:19], -v[50:51]
	;; [unrolled: 2-line block ×3, first 2 shown]
	ds_load_b128 v[0:3], v255
	ds_load_b128 v[4:7], v255 offset:816
	ds_load_b128 v[8:11], v255 offset:1632
	;; [unrolled: 1-line block ×5, first 2 shown]
	v_fma_f64 v[68:69], v[156:157], v[24:25], v[56:57]
	v_fma_f64 v[70:71], v[156:157], v[26:27], -v[58:59]
	s_wait_dscnt 0x5
	v_add_f64_e64 v[24:25], v[0:1], -v[32:33]
	s_wait_dscnt 0x4
	v_add_f64_e64 v[32:33], v[4:5], -v[36:37]
	;; [unrolled: 2-line block ×3, first 2 shown]
	scratch_load_b64 v[40:41], off, off offset:168 th:TH_LOAD_LU ; 8-byte Folded Reload
	v_add_f64_e64 v[26:27], v[2:3], -v[34:35]
	v_add_f64_e64 v[34:35], v[6:7], -v[38:39]
	;; [unrolled: 1-line block ×3, first 2 shown]
	s_wait_dscnt 0x2
	v_add_f64_e64 v[48:49], v[12:13], -v[44:45]
	v_add_f64_e64 v[50:51], v[14:15], -v[46:47]
	s_wait_dscnt 0x1
	v_add_f64_e64 v[52:53], v[16:17], -v[60:61]
	v_add_f64_e64 v[54:55], v[18:19], -v[62:63]
	s_wait_dscnt 0x0
	v_add_f64_e64 v[56:57], v[20:21], -v[64:65]
	v_add_f64_e64 v[58:59], v[22:23], -v[66:67]
	v_add_f64_e64 v[60:61], v[28:29], -v[68:69]
	v_add_f64_e64 v[62:63], v[30:31], -v[70:71]
	v_mad_co_u64_u32 v[42:43], null, s4, v236, 0
	v_fma_f64 v[0:1], v[0:1], 2.0, -v[24:25]
	v_fma_f64 v[4:5], v[4:5], 2.0, -v[32:33]
	;; [unrolled: 1-line block ×14, first 2 shown]
	ds_store_b128 v255, v[32:35] offset:6528
	ds_store_b128 v255, v[36:39] offset:7344
	;; [unrolled: 1-line block ×6, first 2 shown]
	ds_store_b128 v255, v[0:3]
	ds_store_b128 v255, v[4:7] offset:816
	ds_store_b128 v255, v[8:11] offset:1632
	ds_store_b128 v255, v[12:15] offset:2448
	ds_store_b128 v255, v[16:19] offset:3264
	ds_store_b128 v255, v[20:23] offset:4080
	ds_store_b128 v255, v[24:27] offset:5712
	ds_store_b128 v255, v[28:31] offset:4896
	global_wb scope:SCOPE_SE
	s_wait_loadcnt_dscnt 0x0
	s_barrier_signal -1
	s_barrier_wait -1
	global_inv scope:SCOPE_SE
	ds_load_b128 v[0:3], v255
	ds_load_b128 v[12:15], v255 offset:816
	ds_load_b128 v[4:7], v255 offset:3808
	;; [unrolled: 1-line block ×7, first 2 shown]
	v_mov_b32_e32 v44, v40
	s_delay_alu instid0(VALU_DEP_1) | instskip(NEXT) | instid1(VALU_DEP_1)
	v_mad_co_u64_u32 v[40:41], null, s6, v44, 0
	v_mad_co_u64_u32 v[44:45], null, s7, v44, v[41:42]
	v_mov_b32_e32 v41, v43
	s_movk_i32 s6, 0xfe57
	s_mov_b32 s7, -1
	s_delay_alu instid0(VALU_DEP_1) | instskip(NEXT) | instid1(VALU_DEP_3)
	v_mad_co_u64_u32 v[45:46], null, s5, v236, v[41:42]
	v_mov_b32_e32 v41, v44
	s_wait_alu 0xfffe
	s_mul_u64 s[4:5], s[4:5], s[6:7]
	s_wait_alu 0xfffe
	s_lshl_b64 s[6:7], s[4:5], 4
	s_mov_b32 s4, 0x16f26017
	v_lshlrev_b64_e32 v[32:33], 4, v[40:41]
	v_mov_b32_e32 v43, v45
	s_mov_b32 s5, 0x3f56f260
	s_delay_alu instid0(VALU_DEP_2) | instskip(SKIP_1) | instid1(VALU_DEP_3)
	v_add_co_u32 v98, s0, s8, v32
	s_wait_alu 0xf1ff
	v_add_co_ci_u32_e64 v99, s0, s9, v33, s0
	ds_load_b128 v[32:35], v255 offset:9248
	ds_load_b128 v[36:39], v255 offset:2448
	;; [unrolled: 1-line block ×4, first 2 shown]
	s_clause 0x3
	scratch_load_b128 v[116:119], off, off offset:72 th:TH_LOAD_LU
	scratch_load_b128 v[126:129], off, off offset:136 th:TH_LOAD_LU
	;; [unrolled: 1-line block ×4, first 2 shown]
	v_lshlrev_b64_e32 v[40:41], 4, v[42:43]
	s_delay_alu instid0(VALU_DEP_1) | instskip(SKIP_1) | instid1(VALU_DEP_2)
	v_add_co_u32 v98, s0, v98, v40
	s_wait_alu 0xf1ff
	v_add_co_ci_u32_e64 v99, s0, v99, v41, s0
	s_delay_alu instid0(VALU_DEP_2) | instskip(SKIP_1) | instid1(VALU_DEP_2)
	v_add_co_u32 v100, s0, v98, s2
	s_wait_alu 0xf1ff
	v_add_co_ci_u32_e64 v101, s0, s3, v99, s0
	s_delay_alu instid0(VALU_DEP_2) | instskip(SKIP_1) | instid1(VALU_DEP_2)
	v_add_co_u32 v102, s0, v100, s2
	s_wait_alu 0xf1ff
	v_add_co_ci_u32_e64 v103, s0, s3, v101, s0
	s_wait_loadcnt_dscnt 0x308
	v_mul_f64_e32 v[58:59], v[118:119], v[10:11]
	v_mul_f64_e32 v[60:61], v[118:119], v[8:9]
	scratch_load_b128 v[118:121], off, off offset:88 th:TH_LOAD_LU ; 16-byte Folded Reload
	s_wait_loadcnt_dscnt 0x305
	v_mul_f64_e32 v[74:75], v[128:129], v[26:27]
	v_mul_f64_e32 v[76:77], v[128:129], v[24:25]
	scratch_load_b128 v[128:131], off, off offset:152 th:TH_LOAD_LU ; 16-byte Folded Reload
	s_wait_loadcnt 0x3
	v_mul_f64_e32 v[42:43], v[106:107], v[2:3]
	v_mul_f64_e32 v[44:45], v[106:107], v[0:1]
	scratch_load_b128 v[106:109], off, off offset:24 th:TH_LOAD_LU ; 16-byte Folded Reload
	s_wait_loadcnt 0x3
	v_mul_f64_e32 v[46:47], v[112:113], v[6:7]
	v_mul_f64_e32 v[56:57], v[112:113], v[4:5]
	scratch_load_b128 v[112:115], off, off offset:56 th:TH_LOAD_LU ; 16-byte Folded Reload
	v_fma_f64 v[0:1], v[104:105], v[0:1], v[42:43]
	v_fma_f64 v[40:41], v[104:105], v[2:3], -v[44:45]
	v_fma_f64 v[42:43], v[110:111], v[4:5], v[46:47]
	v_fma_f64 v[44:45], v[110:111], v[6:7], -v[56:57]
	;; [unrolled: 2-line block ×3, first 2 shown]
	s_wait_alu 0xfffe
	v_mul_f64_e32 v[2:3], s[4:5], v[0:1]
	v_mul_f64_e32 v[4:5], s[4:5], v[40:41]
	;; [unrolled: 1-line block ×5, first 2 shown]
	s_wait_loadcnt 0x3
	v_mul_f64_e32 v[70:71], v[120:121], v[22:23]
	v_mul_f64_e32 v[72:73], v[120:121], v[20:21]
	scratch_load_b128 v[120:123], off, off offset:104 th:TH_LOAD_LU ; 16-byte Folded Reload
	s_wait_loadcnt_dscnt 0x302
	v_mul_f64_e32 v[86:87], v[130:131], v[38:39]
	v_mul_f64_e32 v[88:89], v[130:131], v[36:37]
	scratch_load_b128 v[130:133], off, off offset:176 th:TH_LOAD_LU ; 16-byte Folded Reload
	s_wait_loadcnt 0x3
	v_mul_f64_e32 v[62:63], v[108:109], v[14:15]
	v_mul_f64_e32 v[64:65], v[108:109], v[12:13]
	s_wait_loadcnt 0x2
	v_mul_f64_e32 v[66:67], v[114:115], v[18:19]
	v_mul_f64_e32 v[68:69], v[114:115], v[16:17]
	s_delay_alu instid0(VALU_DEP_4) | instskip(NEXT) | instid1(VALU_DEP_4)
	v_fma_f64 v[58:59], v[106:107], v[12:13], v[62:63]
	v_fma_f64 v[60:61], v[106:107], v[14:15], -v[64:65]
	v_mul_f64_e32 v[12:13], s[4:5], v[56:57]
	v_fma_f64 v[62:63], v[112:113], v[16:17], v[66:67]
	v_fma_f64 v[64:65], v[112:113], v[18:19], -v[68:69]
	v_fma_f64 v[66:67], v[118:119], v[20:21], v[70:71]
	v_fma_f64 v[68:69], v[118:119], v[22:23], -v[72:73]
	v_fma_f64 v[70:71], v[126:127], v[24:25], v[74:75]
	v_fma_f64 v[72:73], v[126:127], v[26:27], -v[76:77]
	v_mul_f64_e32 v[14:15], s[4:5], v[58:59]
	v_mul_f64_e32 v[16:17], s[4:5], v[60:61]
	;; [unrolled: 1-line block ×7, first 2 shown]
	s_wait_loadcnt 0x1
	v_mul_f64_e32 v[78:79], v[122:123], v[30:31]
	v_mul_f64_e32 v[80:81], v[122:123], v[28:29]
	scratch_load_b128 v[122:125], off, off offset:120 th:TH_LOAD_LU ; 16-byte Folded Reload
	s_wait_loadcnt_dscnt 0x101
	v_mul_f64_e32 v[90:91], v[132:133], v[50:51]
	v_mul_f64_e32 v[92:93], v[132:133], v[48:49]
	scratch_load_b128 v[132:135], off, off offset:192 th:TH_LOAD_LU ; 16-byte Folded Reload
	v_fma_f64 v[74:75], v[120:121], v[28:29], v[78:79]
	v_fma_f64 v[76:77], v[120:121], v[30:31], -v[80:81]
	v_mul_f64_e32 v[28:29], s[4:5], v[72:73]
	v_fma_f64 v[48:49], v[130:131], v[48:49], v[90:91]
	v_fma_f64 v[50:51], v[130:131], v[50:51], -v[92:93]
	v_mul_f64_e32 v[30:31], s[4:5], v[74:75]
	s_delay_alu instid0(VALU_DEP_3) | instskip(NEXT) | instid1(VALU_DEP_3)
	v_mul_f64_e32 v[42:43], s[4:5], v[48:49]
	v_mul_f64_e32 v[44:45], s[4:5], v[50:51]
	s_wait_loadcnt 0x1
	v_mul_f64_e32 v[82:83], v[124:125], v[34:35]
	v_mul_f64_e32 v[84:85], v[124:125], v[32:33]
	s_wait_loadcnt_dscnt 0x0
	v_mul_f64_e32 v[94:95], v[134:135], v[54:55]
	v_mul_f64_e32 v[96:97], v[134:135], v[52:53]
	s_delay_alu instid0(VALU_DEP_4) | instskip(NEXT) | instid1(VALU_DEP_4)
	v_fma_f64 v[78:79], v[122:123], v[32:33], v[82:83]
	v_fma_f64 v[80:81], v[122:123], v[34:35], -v[84:85]
	v_fma_f64 v[82:83], v[128:129], v[36:37], v[86:87]
	v_fma_f64 v[84:85], v[128:129], v[38:39], -v[88:89]
	;; [unrolled: 2-line block ×3, first 2 shown]
	v_add_co_u32 v86, s0, v102, s6
	s_wait_alu 0xf1ff
	v_add_co_ci_u32_e64 v87, s0, s7, v103, s0
	v_mul_f64_e32 v[32:33], s[4:5], v[76:77]
	s_delay_alu instid0(VALU_DEP_3) | instskip(SKIP_1) | instid1(VALU_DEP_3)
	v_add_co_u32 v88, s0, v86, s2
	s_wait_alu 0xf1ff
	v_add_co_ci_u32_e64 v89, s0, s3, v87, s0
	s_delay_alu instid0(VALU_DEP_2) | instskip(SKIP_1) | instid1(VALU_DEP_2)
	v_add_co_u32 v90, s0, v88, s2
	s_wait_alu 0xf1ff
	v_add_co_ci_u32_e64 v91, s0, s3, v89, s0
	s_delay_alu instid0(VALU_DEP_2) | instskip(SKIP_1) | instid1(VALU_DEP_2)
	v_add_co_u32 v50, s0, v90, s6
	s_wait_alu 0xf1ff
	v_add_co_ci_u32_e64 v51, s0, s7, v91, s0
	v_mul_f64_e32 v[34:35], s[4:5], v[78:79]
	v_mul_f64_e32 v[36:37], s[4:5], v[80:81]
	;; [unrolled: 1-line block ×6, first 2 shown]
	v_add_co_u32 v52, s0, v50, s2
	s_wait_alu 0xf1ff
	v_add_co_ci_u32_e64 v53, s0, s3, v51, s0
	s_delay_alu instid0(VALU_DEP_2) | instskip(SKIP_1) | instid1(VALU_DEP_2)
	v_add_co_u32 v54, s0, v52, s2
	s_wait_alu 0xf1ff
	v_add_co_ci_u32_e64 v55, s0, s3, v53, s0
	s_delay_alu instid0(VALU_DEP_2) | instskip(SKIP_1) | instid1(VALU_DEP_2)
	;; [unrolled: 4-line block ×4, first 2 shown]
	v_add_co_u32 v0, s0, v58, s2
	s_wait_alu 0xf1ff
	v_add_co_ci_u32_e64 v1, s0, s3, v59, s0
	s_clause 0x4
	global_store_b128 v[98:99], v[2:5], off
	global_store_b128 v[100:101], v[6:9], off
	;; [unrolled: 1-line block ×12, first 2 shown]
	s_and_b32 exec_lo, exec_lo, vcc_lo
	s_cbranch_execz .LBB0_23
; %bb.22:
	scratch_load_b64 v[16:17], off, off th:TH_LOAD_LU ; 8-byte Folded Reload
	s_wait_loadcnt 0x0
	global_load_b128 v[2:5], v[16:17], off offset:3264
	ds_load_b128 v[6:9], v255 offset:3264
	ds_load_b128 v[10:13], v255 offset:7072
	s_wait_loadcnt_dscnt 0x1
	v_mul_f64_e32 v[14:15], v[8:9], v[4:5]
	v_mul_f64_e32 v[4:5], v[6:7], v[4:5]
	s_delay_alu instid0(VALU_DEP_2) | instskip(NEXT) | instid1(VALU_DEP_2)
	v_fma_f64 v[6:7], v[6:7], v[2:3], v[14:15]
	v_fma_f64 v[4:5], v[2:3], v[8:9], -v[4:5]
	s_delay_alu instid0(VALU_DEP_2) | instskip(NEXT) | instid1(VALU_DEP_2)
	v_mul_f64_e32 v[2:3], s[4:5], v[6:7]
	v_mul_f64_e32 v[4:5], s[4:5], v[4:5]
	v_add_co_u32 v6, vcc_lo, v0, s6
	s_wait_alu 0xfffd
	v_add_co_ci_u32_e32 v7, vcc_lo, s7, v1, vcc_lo
	s_delay_alu instid0(VALU_DEP_2) | instskip(SKIP_1) | instid1(VALU_DEP_2)
	v_add_co_u32 v8, vcc_lo, v6, s2
	s_wait_alu 0xfffd
	v_add_co_ci_u32_e32 v9, vcc_lo, s3, v7, vcc_lo
	global_store_b128 v[6:7], v[2:5], off
	global_load_b128 v[0:3], v[16:17], off offset:7072
	s_wait_loadcnt_dscnt 0x0
	v_mul_f64_e32 v[4:5], v[12:13], v[2:3]
	v_mul_f64_e32 v[2:3], v[10:11], v[2:3]
	s_delay_alu instid0(VALU_DEP_2) | instskip(NEXT) | instid1(VALU_DEP_2)
	v_fma_f64 v[4:5], v[10:11], v[0:1], v[4:5]
	v_fma_f64 v[2:3], v[0:1], v[12:13], -v[2:3]
	s_delay_alu instid0(VALU_DEP_2) | instskip(NEXT) | instid1(VALU_DEP_2)
	v_mul_f64_e32 v[0:1], s[4:5], v[4:5]
	v_mul_f64_e32 v[2:3], s[4:5], v[2:3]
	ds_load_b128 v[4:7], v255 offset:10880
	global_store_b128 v[8:9], v[0:3], off
	global_load_b128 v[0:3], v[16:17], off offset:10880
	s_wait_loadcnt_dscnt 0x0
	v_mul_f64_e32 v[10:11], v[6:7], v[2:3]
	v_mul_f64_e32 v[2:3], v[4:5], v[2:3]
	s_delay_alu instid0(VALU_DEP_2) | instskip(NEXT) | instid1(VALU_DEP_2)
	v_fma_f64 v[4:5], v[4:5], v[0:1], v[10:11]
	v_fma_f64 v[2:3], v[0:1], v[6:7], -v[2:3]
	s_delay_alu instid0(VALU_DEP_2) | instskip(NEXT) | instid1(VALU_DEP_2)
	v_mul_f64_e32 v[0:1], s[4:5], v[4:5]
	v_mul_f64_e32 v[2:3], s[4:5], v[2:3]
	v_add_co_u32 v4, vcc_lo, v8, s2
	s_wait_alu 0xfffd
	v_add_co_ci_u32_e32 v5, vcc_lo, s3, v9, vcc_lo
	global_store_b128 v[4:5], v[0:3], off
.LBB0_23:
	s_nop 0
	s_sendmsg sendmsg(MSG_DEALLOC_VGPRS)
	s_endpgm
	.section	.rodata,"a",@progbits
	.p2align	6, 0x0
	.amdhsa_kernel bluestein_single_back_len714_dim1_dp_op_CI_CI
		.amdhsa_group_segment_fixed_size 11424
		.amdhsa_private_segment_fixed_size 740
		.amdhsa_kernarg_size 104
		.amdhsa_user_sgpr_count 2
		.amdhsa_user_sgpr_dispatch_ptr 0
		.amdhsa_user_sgpr_queue_ptr 0
		.amdhsa_user_sgpr_kernarg_segment_ptr 1
		.amdhsa_user_sgpr_dispatch_id 0
		.amdhsa_user_sgpr_private_segment_size 0
		.amdhsa_wavefront_size32 1
		.amdhsa_uses_dynamic_stack 0
		.amdhsa_enable_private_segment 1
		.amdhsa_system_sgpr_workgroup_id_x 1
		.amdhsa_system_sgpr_workgroup_id_y 0
		.amdhsa_system_sgpr_workgroup_id_z 0
		.amdhsa_system_sgpr_workgroup_info 0
		.amdhsa_system_vgpr_workitem_id 0
		.amdhsa_next_free_vgpr 256
		.amdhsa_next_free_sgpr 62
		.amdhsa_reserve_vcc 1
		.amdhsa_float_round_mode_32 0
		.amdhsa_float_round_mode_16_64 0
		.amdhsa_float_denorm_mode_32 3
		.amdhsa_float_denorm_mode_16_64 3
		.amdhsa_fp16_overflow 0
		.amdhsa_workgroup_processor_mode 1
		.amdhsa_memory_ordered 1
		.amdhsa_forward_progress 0
		.amdhsa_round_robin_scheduling 0
		.amdhsa_exception_fp_ieee_invalid_op 0
		.amdhsa_exception_fp_denorm_src 0
		.amdhsa_exception_fp_ieee_div_zero 0
		.amdhsa_exception_fp_ieee_overflow 0
		.amdhsa_exception_fp_ieee_underflow 0
		.amdhsa_exception_fp_ieee_inexact 0
		.amdhsa_exception_int_div_zero 0
	.end_amdhsa_kernel
	.text
.Lfunc_end0:
	.size	bluestein_single_back_len714_dim1_dp_op_CI_CI, .Lfunc_end0-bluestein_single_back_len714_dim1_dp_op_CI_CI
                                        ; -- End function
	.section	.AMDGPU.csdata,"",@progbits
; Kernel info:
; codeLenInByte = 26612
; NumSgprs: 64
; NumVgprs: 256
; ScratchSize: 740
; MemoryBound: 0
; FloatMode: 240
; IeeeMode: 1
; LDSByteSize: 11424 bytes/workgroup (compile time only)
; SGPRBlocks: 7
; VGPRBlocks: 31
; NumSGPRsForWavesPerEU: 64
; NumVGPRsForWavesPerEU: 256
; Occupancy: 5
; WaveLimiterHint : 1
; COMPUTE_PGM_RSRC2:SCRATCH_EN: 1
; COMPUTE_PGM_RSRC2:USER_SGPR: 2
; COMPUTE_PGM_RSRC2:TRAP_HANDLER: 0
; COMPUTE_PGM_RSRC2:TGID_X_EN: 1
; COMPUTE_PGM_RSRC2:TGID_Y_EN: 0
; COMPUTE_PGM_RSRC2:TGID_Z_EN: 0
; COMPUTE_PGM_RSRC2:TIDIG_COMP_CNT: 0
	.text
	.p2alignl 7, 3214868480
	.fill 96, 4, 3214868480
	.type	__hip_cuid_73fd9ad76f3219a,@object ; @__hip_cuid_73fd9ad76f3219a
	.section	.bss,"aw",@nobits
	.globl	__hip_cuid_73fd9ad76f3219a
__hip_cuid_73fd9ad76f3219a:
	.byte	0                               ; 0x0
	.size	__hip_cuid_73fd9ad76f3219a, 1

	.ident	"AMD clang version 19.0.0git (https://github.com/RadeonOpenCompute/llvm-project roc-6.4.0 25133 c7fe45cf4b819c5991fe208aaa96edf142730f1d)"
	.section	".note.GNU-stack","",@progbits
	.addrsig
	.addrsig_sym __hip_cuid_73fd9ad76f3219a
	.amdgpu_metadata
---
amdhsa.kernels:
  - .args:
      - .actual_access:  read_only
        .address_space:  global
        .offset:         0
        .size:           8
        .value_kind:     global_buffer
      - .actual_access:  read_only
        .address_space:  global
        .offset:         8
        .size:           8
        .value_kind:     global_buffer
      - .actual_access:  read_only
        .address_space:  global
        .offset:         16
        .size:           8
        .value_kind:     global_buffer
      - .actual_access:  read_only
        .address_space:  global
        .offset:         24
        .size:           8
        .value_kind:     global_buffer
      - .actual_access:  read_only
        .address_space:  global
        .offset:         32
        .size:           8
        .value_kind:     global_buffer
      - .offset:         40
        .size:           8
        .value_kind:     by_value
      - .address_space:  global
        .offset:         48
        .size:           8
        .value_kind:     global_buffer
      - .address_space:  global
        .offset:         56
        .size:           8
        .value_kind:     global_buffer
      - .address_space:  global
        .offset:         64
        .size:           8
        .value_kind:     global_buffer
      - .address_space:  global
        .offset:         72
        .size:           8
        .value_kind:     global_buffer
      - .offset:         80
        .size:           4
        .value_kind:     by_value
      - .address_space:  global
        .offset:         88
        .size:           8
        .value_kind:     global_buffer
      - .address_space:  global
        .offset:         96
        .size:           8
        .value_kind:     global_buffer
    .group_segment_fixed_size: 11424
    .kernarg_segment_align: 8
    .kernarg_segment_size: 104
    .language:       OpenCL C
    .language_version:
      - 2
      - 0
    .max_flat_workgroup_size: 51
    .name:           bluestein_single_back_len714_dim1_dp_op_CI_CI
    .private_segment_fixed_size: 740
    .sgpr_count:     64
    .sgpr_spill_count: 0
    .symbol:         bluestein_single_back_len714_dim1_dp_op_CI_CI.kd
    .uniform_work_group_size: 1
    .uses_dynamic_stack: false
    .vgpr_count:     256
    .vgpr_spill_count: 295
    .wavefront_size: 32
    .workgroup_processor_mode: 1
amdhsa.target:   amdgcn-amd-amdhsa--gfx1201
amdhsa.version:
  - 1
  - 2
...

	.end_amdgpu_metadata
